;; amdgpu-corpus repo=ROCm/rocFFT kind=compiled arch=gfx906 opt=O3
	.text
	.amdgcn_target "amdgcn-amd-amdhsa--gfx906"
	.amdhsa_code_object_version 6
	.protected	bluestein_single_back_len10000_dim1_half_op_CI_CI ; -- Begin function bluestein_single_back_len10000_dim1_half_op_CI_CI
	.globl	bluestein_single_back_len10000_dim1_half_op_CI_CI
	.p2align	8
	.type	bluestein_single_back_len10000_dim1_half_op_CI_CI,@function
bluestein_single_back_len10000_dim1_half_op_CI_CI: ; @bluestein_single_back_len10000_dim1_half_op_CI_CI
; %bb.0:
	s_load_dwordx4 s[16:19], s[4:5], 0x28
	v_mul_u32_u24_e32 v1, 0x20d, v0
	s_mov_b64 s[22:23], s[2:3]
	v_lshrrev_b32_e32 v1, 18, v1
	s_mov_b64 s[20:21], s[0:1]
	v_add_u32_e32 v2, s6, v1
	v_mov_b32_e32 v3, 0
	s_add_u32 s20, s20, s7
	s_waitcnt lgkmcnt(0)
	v_cmp_gt_u64_e32 vcc, s[16:17], v[2:3]
	s_addc_u32 s21, s21, 0
	s_and_saveexec_b64 s[0:1], vcc
	s_cbranch_execz .LBB0_2
; %bb.1:
	s_load_dwordx4 s[8:11], s[4:5], 0x18
	s_load_dwordx4 s[0:3], s[4:5], 0x0
	v_mov_b32_e32 v4, v2
	v_mul_lo_u16_e32 v1, 0x1f4, v1
	v_sub_u16_e32 v86, v0, v1
	s_waitcnt lgkmcnt(0)
	s_load_dwordx4 s[12:15], s[8:9], 0x0
	buffer_store_dword v4, off, s[20:23], 0 offset:60 ; 4-byte Folded Spill
	s_nop 0
	buffer_store_dword v5, off, s[20:23], 0 offset:64 ; 4-byte Folded Spill
	v_lshlrev_b32_e32 v73, 2, v86
	global_load_dword v78, v73, s[0:1]
	v_lshlrev_b32_e32 v36, 4, v86
	s_waitcnt lgkmcnt(0)
	v_mad_u64_u32 v[0:1], s[6:7], s14, v2, 0
	v_mad_u64_u32 v[2:3], s[6:7], s12, v86, 0
	s_mul_i32 s14, s12, 0x2710
	s_mul_hi_u32 s8, s12, 0xffff92a0
	s_load_dwordx2 s[4:5], s[4:5], 0x38
	v_mad_u64_u32 v[4:5], s[6:7], s15, v4, v[1:2]
	s_movk_i32 s15, 0x3e8
	v_mad_u64_u32 v[5:6], s[6:7], s13, v86, v[3:4]
	v_mov_b32_e32 v1, v4
	v_lshlrev_b64 v[0:1], 2, v[0:1]
	v_mov_b32_e32 v3, v5
	v_mov_b32_e32 v6, s19
	v_lshlrev_b64 v[2:3], 2, v[2:3]
	v_add_co_u32_e32 v0, vcc, s18, v0
	v_addc_co_u32_e32 v1, vcc, v6, v1, vcc
	v_add_co_u32_e32 v0, vcc, v0, v2
	v_addc_co_u32_e32 v1, vcc, v1, v3, vcc
	global_load_dword v11, v[0:1], off
	v_mov_b32_e32 v2, s1
	v_add_co_u32_e32 v87, vcc, s0, v73
	s_mul_i32 s6, s13, 0x2710
	s_mul_hi_u32 s7, s12, 0x2710
	v_addc_co_u32_e32 v88, vcc, 0, v2, vcc
	s_add_i32 s7, s7, s6
	v_mov_b32_e32 v2, s7
	v_add_co_u32_e32 v0, vcc, s14, v0
	v_addc_co_u32_e32 v1, vcc, v1, v2, vcc
	s_movk_i32 s6, 0x2000
	v_add_co_u32_e32 v5, vcc, s6, v87
	global_load_dword v12, v[0:1], off
	v_addc_co_u32_e32 v6, vcc, 0, v88, vcc
	global_load_dword v90, v[5:6], off offset:1808
	v_add_co_u32_e32 v7, vcc, s14, v0
	v_addc_co_u32_e32 v8, vcc, v1, v2, vcc
	s_movk_i32 s6, 0x4000
	v_add_co_u32_e32 v0, vcc, s6, v87
	global_load_dword v3, v[7:8], off
	v_addc_co_u32_e32 v1, vcc, 0, v88, vcc
	global_load_dword v85, v[0:1], off offset:3616
	;; [unrolled: 7-line block ×3, first 2 shown]
	s_mul_i32 s6, s13, 0xffff92a0
	s_sub_i32 s13, s8, s12
	s_add_i32 s13, s13, s6
	s_mulk_i32 s12, 0x92a0
	v_mov_b32_e32 v2, s13
	v_add_co_u32_e32 v7, vcc, s12, v7
	v_addc_co_u32_e32 v8, vcc, v8, v2, vcc
	global_load_dword v13, v[7:8], off
	global_load_dword v22, v73, s[0:1] offset:2000
	v_mov_b32_e32 v2, s7
	v_add_co_u32_e32 v7, vcc, s14, v7
	v_addc_co_u32_e32 v8, vcc, v8, v2, vcc
	global_load_dword v14, v[7:8], off
	global_load_dword v21, v[5:6], off offset:3808
	v_add_co_u32_e32 v5, vcc, s14, v7
	v_addc_co_u32_e32 v6, vcc, v8, v2, vcc
	s_movk_i32 s6, 0x5000
	v_add_co_u32_e32 v7, vcc, s6, v87
	global_load_dword v15, v[5:6], off
	v_addc_co_u32_e32 v8, vcc, 0, v88, vcc
	global_load_dword v20, v[7:8], off offset:1520
	v_add_co_u32_e32 v5, vcc, s14, v5
	v_addc_co_u32_e32 v6, vcc, v6, v2, vcc
	global_load_dword v16, v[5:6], off
	global_load_dword v18, v[9:10], off offset:3328
	v_mov_b32_e32 v2, s13
	v_add_co_u32_e32 v5, vcc, s12, v5
	v_addc_co_u32_e32 v6, vcc, v6, v2, vcc
	global_load_dword v2, v[5:6], off
	global_load_dword v17, v73, s[0:1] offset:4000
	s_waitcnt vmcnt(16)
	v_lshrrev_b32_e32 v9, 16, v11
	v_mul_f16_sdwa v10, v78, v9 dst_sel:DWORD dst_unused:UNUSED_PAD src0_sel:WORD_1 src1_sel:DWORD
	v_fma_f16 v10, v78, v11, v10
	v_mul_f16_sdwa v11, v78, v11 dst_sel:DWORD dst_unused:UNUSED_PAD src0_sel:WORD_1 src1_sel:DWORD
	v_fma_f16 v9, v78, v9, -v11
	v_pack_b32_f16 v9, v10, v9
	ds_write_b32 v73, v9
	global_load_dword v19, v[0:1], off offset:1616
	global_load_dword v26, v[7:8], off offset:3520
	s_movk_i32 s0, 0x1f4
	v_add_co_u32_e32 v28, vcc, s0, v86
	v_add_co_u32_e32 v8, vcc, s15, v86
	s_movk_i32 s0, 0x3000
	s_mov_b32 s6, 0x8000
	s_waitcnt vmcnt(17)
	v_lshrrev_b32_e32 v9, 16, v12
	s_load_dwordx4 s[8:11], s[10:11], 0x0
	v_lshlrev_b32_e32 v37, 4, v28
	s_waitcnt vmcnt(16)
	v_mul_f16_sdwa v10, v90, v9 dst_sel:DWORD dst_unused:UNUSED_PAD src0_sel:WORD_1 src1_sel:DWORD
	v_mul_f16_sdwa v11, v90, v12 dst_sel:DWORD dst_unused:UNUSED_PAD src0_sel:WORD_1 src1_sel:DWORD
	v_fma_f16 v10, v90, v12, v10
	v_fma_f16 v9, v90, v9, -v11
	v_pack_b32_f16 v9, v10, v9
	ds_write_b32 v73, v9 offset:10000
	v_lshlrev_b32_e32 v40, 4, v8
	s_movk_i32 s1, 0x38b4
	s_waitcnt vmcnt(15)
	v_lshrrev_b32_e32 v9, 16, v3
	s_waitcnt vmcnt(14)
	v_mul_f16_sdwa v0, v85, v9 dst_sel:DWORD dst_unused:UNUSED_PAD src0_sel:WORD_1 src1_sel:DWORD
	v_mul_f16_sdwa v1, v85, v3 dst_sel:DWORD dst_unused:UNUSED_PAD src0_sel:WORD_1 src1_sel:DWORD
	v_fma_f16 v0, v85, v3, v0
	v_fma_f16 v1, v85, v9, -v1
	v_pack_b32_f16 v0, v0, v1
	ds_write_b32 v73, v0 offset:20000
	v_mov_b32_e32 v9, s13
	s_waitcnt vmcnt(13)
	v_lshrrev_b32_e32 v0, 16, v4
	s_waitcnt vmcnt(12)
	v_mul_f16_sdwa v1, v84, v0 dst_sel:DWORD dst_unused:UNUSED_PAD src0_sel:WORD_1 src1_sel:DWORD
	v_mul_f16_sdwa v3, v84, v4 dst_sel:DWORD dst_unused:UNUSED_PAD src0_sel:WORD_1 src1_sel:DWORD
	v_fma_f16 v1, v84, v4, v1
	v_fma_f16 v0, v84, v0, -v3
	v_pack_b32_f16 v0, v1, v0
	ds_write_b32 v73, v0 offset:30000
	s_waitcnt vmcnt(11)
	v_lshrrev_b32_e32 v0, 16, v13
	s_waitcnt vmcnt(10)
	v_mul_f16_sdwa v1, v22, v0 dst_sel:DWORD dst_unused:UNUSED_PAD src0_sel:WORD_1 src1_sel:DWORD
	v_mul_f16_sdwa v3, v22, v13 dst_sel:DWORD dst_unused:UNUSED_PAD src0_sel:WORD_1 src1_sel:DWORD
	v_fma_f16 v1, v22, v13, v1
	v_fma_f16 v0, v22, v0, -v3
	v_pack_b32_f16 v0, v1, v0
	ds_write_b32 v73, v0 offset:2000
	;; [unrolled: 9-line block ×3, first 2 shown]
	buffer_store_dword v22, off, s[20:23], 0 offset:68 ; 4-byte Folded Spill
	s_waitcnt vmcnt(8)
	v_lshrrev_b32_e32 v0, 16, v15
	buffer_store_dword v21, off, s[20:23], 0 offset:56 ; 4-byte Folded Spill
	s_waitcnt vmcnt(8)
	v_mul_f16_sdwa v1, v20, v0 dst_sel:DWORD dst_unused:UNUSED_PAD src0_sel:WORD_1 src1_sel:DWORD
	v_mul_f16_sdwa v3, v20, v15 dst_sel:DWORD dst_unused:UNUSED_PAD src0_sel:WORD_1 src1_sel:DWORD
	v_fma_f16 v1, v20, v15, v1
	v_fma_f16 v0, v20, v0, -v3
	v_pack_b32_f16 v0, v1, v0
	ds_write_b32 v73, v0 offset:22000
	s_waitcnt vmcnt(7)
	v_lshrrev_b32_e32 v0, 16, v16
	s_waitcnt vmcnt(6)
	v_mul_f16_sdwa v1, v18, v0 dst_sel:DWORD dst_unused:UNUSED_PAD src0_sel:WORD_1 src1_sel:DWORD
	v_mul_f16_sdwa v3, v18, v16 dst_sel:DWORD dst_unused:UNUSED_PAD src0_sel:WORD_1 src1_sel:DWORD
	v_fma_f16 v1, v18, v16, v1
	v_fma_f16 v0, v18, v0, -v3
	v_pack_b32_f16 v0, v1, v0
	s_waitcnt vmcnt(5)
	v_lshrrev_b32_e32 v7, 16, v2
	ds_write_b32 v73, v0 offset:32000
	s_waitcnt vmcnt(4)
	v_mul_f16_sdwa v0, v17, v7 dst_sel:DWORD dst_unused:UNUSED_PAD src0_sel:WORD_1 src1_sel:DWORD
	v_fma_f16 v11, v17, v2, v0
	v_mov_b32_e32 v1, s7
	v_add_co_u32_e32 v0, vcc, s14, v5
	v_addc_co_u32_e32 v1, vcc, v6, v1, vcc
	v_add_co_u32_e32 v3, vcc, s0, v87
	global_load_dword v12, v[0:1], off
	v_addc_co_u32_e32 v4, vcc, 0, v88, vcc
	global_load_dword v27, v[3:4], off offset:1712
	v_mov_b32_e32 v5, s7
	v_add_co_u32_e32 v0, vcc, s14, v0
	v_addc_co_u32_e32 v1, vcc, v1, v5, vcc
	global_load_dword v13, v[0:1], off
	v_add_co_u32_e32 v0, vcc, s14, v0
	v_addc_co_u32_e32 v1, vcc, v1, v5, vcc
	v_add_co_u32_e32 v5, vcc, s6, v87
	global_load_dword v14, v[0:1], off
	v_addc_co_u32_e32 v6, vcc, 0, v88, vcc
	global_load_dword v25, v[5:6], off offset:1232
	v_add_co_u32_e32 v0, vcc, s12, v0
	v_addc_co_u32_e32 v1, vcc, v1, v9, vcc
	s_movk_i32 s0, 0x1000
	v_add_co_u32_e32 v9, vcc, s0, v87
	global_load_dword v15, v[0:1], off
	v_addc_co_u32_e32 v10, vcc, 0, v88, vcc
	global_load_dword v24, v[9:10], off offset:1904
	v_mov_b32_e32 v16, s7
	v_add_co_u32_e32 v0, vcc, s14, v0
	buffer_store_dword v20, off, s[20:23], 0 offset:52 ; 4-byte Folded Spill
	buffer_store_dword v18, off, s[20:23], 0 offset:44 ; 4-byte Folded Spill
	v_addc_co_u32_e32 v1, vcc, v1, v16, vcc
	global_load_dword v16, v[0:1], off
	global_load_dword v23, v[3:4], off offset:3712
	v_mov_b32_e32 v3, s7
	v_add_co_u32_e32 v0, vcc, s14, v0
	v_addc_co_u32_e32 v1, vcc, v1, v3, vcc
	s_movk_i32 s0, 0x6000
	v_add_co_u32_e32 v3, vcc, s0, v87
	v_mov_b32_e32 v29, v17
	global_load_dword v17, v[0:1], off
	v_addc_co_u32_e32 v4, vcc, 0, v88, vcc
	global_load_dword v22, v[3:4], off offset:1424
	v_mov_b32_e32 v18, s7
	v_add_co_u32_e32 v0, vcc, s14, v0
	v_addc_co_u32_e32 v1, vcc, v1, v18, vcc
	global_load_dword v18, v[0:1], off
	global_load_dword v21, v[5:6], off offset:3232
	v_mov_b32_e32 v5, s13
	v_add_co_u32_e32 v0, vcc, s12, v0
	v_addc_co_u32_e32 v1, vcc, v1, v5, vcc
	global_load_dword v5, v[0:1], off
	;; [unrolled: 5-line block ×3, first 2 shown]
	v_mov_b32_e32 v9, s7
	v_add_co_u32_e32 v0, vcc, s14, v0
	v_addc_co_u32_e32 v1, vcc, v1, v9, vcc
	global_load_dword v9, v[0:1], off
	global_load_dword v10, v[3:4], off offset:3424
	v_mov_b32_e32 v3, s7
	v_add_co_u32_e32 v0, vcc, s14, v0
	v_addc_co_u32_e32 v1, vcc, v1, v3, vcc
	s_mov_b32 s0, 0x9000
	v_add_co_u32_e32 v53, vcc, s0, v87
	global_load_dword v0, v[0:1], off
	v_addc_co_u32_e32 v54, vcc, 0, v88, vcc
	global_load_dword v4, v[53:54], off offset:1136
	v_mul_f16_sdwa v1, v29, v2 dst_sel:DWORD dst_unused:UNUSED_PAD src0_sel:WORD_1 src1_sel:DWORD
	v_fma_f16 v1, v29, v7, -v1
	v_pack_b32_f16 v1, v11, v1
	ds_write_b32 v73, v1 offset:4000
	s_waitcnt vmcnt(21)
	v_lshrrev_b32_e32 v1, 16, v12
	s_waitcnt vmcnt(20)
	v_mul_f16_sdwa v2, v27, v1 dst_sel:DWORD dst_unused:UNUSED_PAD src0_sel:WORD_1 src1_sel:DWORD
	v_mul_f16_sdwa v3, v27, v12 dst_sel:DWORD dst_unused:UNUSED_PAD src0_sel:WORD_1 src1_sel:DWORD
	v_fma_f16 v2, v27, v12, v2
	v_fma_f16 v1, v27, v1, -v3
	v_pack_b32_f16 v1, v2, v1
	ds_write_b32 v73, v1 offset:14000
	s_waitcnt vmcnt(19)
	v_lshrrev_b32_e32 v1, 16, v13
	v_mul_f16_sdwa v2, v26, v1 dst_sel:DWORD dst_unused:UNUSED_PAD src0_sel:WORD_1 src1_sel:DWORD
	v_mul_f16_sdwa v3, v26, v13 dst_sel:DWORD dst_unused:UNUSED_PAD src0_sel:WORD_1 src1_sel:DWORD
	v_fma_f16 v2, v26, v13, v2
	v_fma_f16 v1, v26, v1, -v3
	v_pack_b32_f16 v1, v2, v1
	ds_write_b32 v73, v1 offset:24000
	s_waitcnt vmcnt(18)
	v_lshrrev_b32_e32 v1, 16, v14
	s_waitcnt vmcnt(17)
	v_mul_f16_sdwa v2, v25, v1 dst_sel:DWORD dst_unused:UNUSED_PAD src0_sel:WORD_1 src1_sel:DWORD
	v_mul_f16_sdwa v3, v25, v14 dst_sel:DWORD dst_unused:UNUSED_PAD src0_sel:WORD_1 src1_sel:DWORD
	v_fma_f16 v2, v25, v14, v2
	v_fma_f16 v1, v25, v1, -v3
	v_pack_b32_f16 v1, v2, v1
	ds_write_b32 v73, v1 offset:34000
	s_waitcnt vmcnt(16)
	v_lshrrev_b32_e32 v1, 16, v15
	s_waitcnt vmcnt(15)
	;; [unrolled: 9-line block ×3, first 2 shown]
	v_mul_f16_sdwa v2, v23, v1 dst_sel:DWORD dst_unused:UNUSED_PAD src0_sel:WORD_1 src1_sel:DWORD
	v_mul_f16_sdwa v3, v23, v16 dst_sel:DWORD dst_unused:UNUSED_PAD src0_sel:WORD_1 src1_sel:DWORD
	v_fma_f16 v2, v23, v16, v2
	v_fma_f16 v1, v23, v1, -v3
	v_pack_b32_f16 v1, v2, v1
	ds_write_b32 v73, v1 offset:16000
	buffer_store_dword v29, off, s[20:23], 0 offset:48 ; 4-byte Folded Spill
	s_waitcnt vmcnt(11)
	v_lshrrev_b32_e32 v1, 16, v17
	buffer_store_dword v27, off, s[20:23], 0 offset:40 ; 4-byte Folded Spill
	buffer_store_dword v26, off, s[20:23], 0 offset:36 ; 4-byte Folded Spill
	s_waitcnt vmcnt(12)
	v_mul_f16_sdwa v2, v22, v1 dst_sel:DWORD dst_unused:UNUSED_PAD src0_sel:WORD_1 src1_sel:DWORD
	v_mul_f16_sdwa v3, v22, v17 dst_sel:DWORD dst_unused:UNUSED_PAD src0_sel:WORD_1 src1_sel:DWORD
	v_fma_f16 v2, v22, v17, v2
	v_fma_f16 v1, v22, v1, -v3
	v_pack_b32_f16 v1, v2, v1
	ds_write_b32 v73, v1 offset:26000
	s_waitcnt vmcnt(11)
	v_lshrrev_b32_e32 v1, 16, v18
	s_waitcnt vmcnt(10)
	v_mul_f16_sdwa v2, v21, v1 dst_sel:DWORD dst_unused:UNUSED_PAD src0_sel:WORD_1 src1_sel:DWORD
	v_mul_f16_sdwa v3, v21, v18 dst_sel:DWORD dst_unused:UNUSED_PAD src0_sel:WORD_1 src1_sel:DWORD
	v_fma_f16 v2, v21, v18, v2
	v_fma_f16 v1, v21, v1, -v3
	v_pack_b32_f16 v1, v2, v1
	ds_write_b32 v73, v1 offset:36000
	s_waitcnt vmcnt(9)
	v_lshrrev_b32_e32 v1, 16, v5
	;; [unrolled: 9-line block ×3, first 2 shown]
	v_mul_f16_sdwa v2, v19, v1 dst_sel:DWORD dst_unused:UNUSED_PAD src0_sel:WORD_1 src1_sel:DWORD
	v_mul_f16_sdwa v3, v19, v6 dst_sel:DWORD dst_unused:UNUSED_PAD src0_sel:WORD_1 src1_sel:DWORD
	v_fma_f16 v2, v19, v6, v2
	v_fma_f16 v1, v19, v1, -v3
	v_pack_b32_f16 v1, v2, v1
	ds_write_b32 v73, v1 offset:18000
	s_waitcnt vmcnt(6)
	v_lshrrev_b32_e32 v1, 16, v9
	s_waitcnt vmcnt(5)
	v_mul_f16_sdwa v2, v10, v1 dst_sel:DWORD dst_unused:UNUSED_PAD src0_sel:WORD_1 src1_sel:DWORD
	v_mul_f16_sdwa v3, v10, v9 dst_sel:DWORD dst_unused:UNUSED_PAD src0_sel:WORD_1 src1_sel:DWORD
	v_fma_f16 v2, v10, v9, v2
	v_fma_f16 v1, v10, v1, -v3
	v_pack_b32_f16 v1, v2, v1
	ds_write_b32 v73, v1 offset:28000
	s_waitcnt vmcnt(4)
	v_lshrrev_b32_e32 v1, 16, v0
	buffer_store_dword v25, off, s[20:23], 0 offset:32 ; 4-byte Folded Spill
	s_waitcnt vmcnt(4)
	v_mul_f16_sdwa v2, v4, v1 dst_sel:DWORD dst_unused:UNUSED_PAD src0_sel:WORD_1 src1_sel:DWORD
	v_fma_f16 v2, v4, v0, v2
	v_mul_f16_sdwa v0, v4, v0 dst_sel:DWORD dst_unused:UNUSED_PAD src0_sel:WORD_1 src1_sel:DWORD
	v_fma_f16 v0, v4, v1, -v0
	v_pack_b32_f16 v0, v2, v0
	ds_write_b32 v73, v0 offset:38000
	v_lshlrev_b16_e32 v0, 2, v86
	v_lshlrev_b32_e32 v38, 2, v0
	buffer_store_dword v24, off, s[20:23], 0 offset:28 ; 4-byte Folded Spill
	buffer_store_dword v23, off, s[20:23], 0 offset:24 ; 4-byte Folded Spill
	;; [unrolled: 1-line block ×7, first 2 shown]
	buffer_store_dword v4, off, s[20:23], 0 ; 4-byte Folded Spill
	s_waitcnt vmcnt(0) lgkmcnt(0)
	s_barrier
	buffer_store_dword v38, off, s[20:23], 0 offset:100 ; 4-byte Folded Spill
	buffer_store_dword v37, off, s[20:23], 0 offset:96 ; 4-byte Folded Spill
	ds_read_b32 v0, v73 offset:32000
	ds_read_b32 v1, v73 offset:22000
	;; [unrolled: 1-line block ×14, first 2 shown]
	ds_read_b32 v18, v73
	ds_read_b32 v20, v73 offset:20000
	s_waitcnt lgkmcnt(12)
	v_pk_add_f16 v1, v2, v1 neg_lo:[0,1] neg_hi:[0,1]
	s_waitcnt lgkmcnt(8)
	v_pk_add_f16 v23, v6, v0 neg_lo:[0,1] neg_hi:[0,1]
	v_pk_fma_f16 v0, v6, 2.0, v23 op_sel_hi:[1,0,1] neg_lo:[0,0,1] neg_hi:[0,0,1]
	v_lshrrev_b32_e32 v6, 16, v1
	v_pk_fma_f16 v15, v2, 2.0, v1 op_sel_hi:[1,0,1] neg_lo:[0,0,1] neg_hi:[0,0,1]
	ds_read_b32 v17, v73 offset:26000
	ds_read_b32 v19, v73 offset:28000
	;; [unrolled: 1-line block ×4, first 2 shown]
	v_add_f16_e32 v25, v6, v23
	v_pk_add_f16 v3, v4, v3 neg_lo:[0,1] neg_hi:[0,1]
	s_waitcnt lgkmcnt(8)
	v_pk_add_f16 v13, v9, v13 neg_lo:[0,1] neg_hi:[0,1]
	v_pk_add_f16 v2, v15, v0 neg_lo:[0,1] neg_hi:[0,1]
	v_fma_f16 v26, v6, 2.0, -v25
	v_pk_fma_f16 v6, v9, 2.0, v13 op_sel_hi:[1,0,1] neg_lo:[0,0,1] neg_hi:[0,0,1]
	v_sub_f16_sdwa v9, v3, v13 dst_sel:DWORD dst_unused:UNUSED_PAD src0_sel:DWORD src1_sel:WORD_1
	v_pk_fma_f16 v0, v15, 2.0, v2 op_sel_hi:[1,0,1] neg_lo:[0,0,1] neg_hi:[0,0,1]
	v_pk_fma_f16 v4, v4, 2.0, v3 op_sel_hi:[1,0,1] neg_lo:[0,0,1] neg_hi:[0,0,1]
	v_lshrrev_b32_e32 v15, 16, v3
	v_fma_f16 v29, v3, 2.0, -v9
	s_waitcnt lgkmcnt(3)
	v_pk_add_f16 v3, v5, v17 neg_lo:[0,1] neg_hi:[0,1]
	v_pk_add_f16 v14, v10, v14 neg_lo:[0,1] neg_hi:[0,1]
	v_add_f16_e32 v27, v15, v13
	v_pk_fma_f16 v5, v5, 2.0, v3 op_sel_hi:[1,0,1] neg_lo:[0,0,1] neg_hi:[0,0,1]
	v_pk_fma_f16 v10, v10, 2.0, v14 op_sel_hi:[1,0,1] neg_lo:[0,0,1] neg_hi:[0,0,1]
	v_fma_f16 v30, v15, 2.0, -v27
	v_pk_add_f16 v15, v5, v10 neg_lo:[0,1] neg_hi:[0,1]
	v_pk_fma_f16 v13, v5, 2.0, v15 op_sel_hi:[1,0,1] neg_lo:[0,0,1] neg_hi:[0,0,1]
	v_sub_f16_sdwa v10, v3, v14 dst_sel:DWORD dst_unused:UNUSED_PAD src0_sel:DWORD src1_sel:WORD_1
	v_lshrrev_b32_e32 v5, 16, v3
	v_add_f16_e32 v14, v5, v14
	v_fma_f16 v31, v3, 2.0, -v10
	s_waitcnt lgkmcnt(2)
	v_pk_add_f16 v3, v7, v19 neg_lo:[0,1] neg_hi:[0,1]
	v_fma_f16 v32, v5, 2.0, -v14
	v_pk_fma_f16 v5, v7, 2.0, v3 op_sel_hi:[1,0,1] neg_lo:[0,0,1] neg_hi:[0,0,1]
	v_pk_add_f16 v7, v11, v16 neg_lo:[0,1] neg_hi:[0,1]
	v_pk_fma_f16 v11, v11, 2.0, v7 op_sel_hi:[1,0,1] neg_lo:[0,0,1] neg_hi:[0,0,1]
	v_pk_add_f16 v19, v5, v11 neg_lo:[0,1] neg_hi:[0,1]
	v_pk_fma_f16 v17, v5, 2.0, v19 op_sel_hi:[1,0,1] neg_lo:[0,0,1] neg_hi:[0,0,1]
	v_sub_f16_sdwa v11, v3, v7 dst_sel:DWORD dst_unused:UNUSED_PAD src0_sel:DWORD src1_sel:WORD_1
	v_lshrrev_b32_e32 v5, 16, v3
	v_add_f16_e32 v33, v5, v7
	v_fma_f16 v34, v3, 2.0, -v11
	v_pk_add_f16 v3, v18, v20 neg_lo:[0,1] neg_hi:[0,1]
	s_waitcnt lgkmcnt(0)
	v_pk_add_f16 v7, v21, v22 neg_lo:[0,1] neg_hi:[0,1]
	v_fma_f16 v35, v5, 2.0, -v33
	v_pk_fma_f16 v5, v18, 2.0, v3 op_sel_hi:[1,0,1] neg_lo:[0,0,1] neg_hi:[0,0,1]
	v_pk_fma_f16 v16, v21, 2.0, v7 op_sel_hi:[1,0,1] neg_lo:[0,0,1] neg_hi:[0,0,1]
	v_pk_add_f16 v22, v5, v16 neg_lo:[0,1] neg_hi:[0,1]
	v_lshrrev_b32_e32 v16, 16, v3
	s_movk_i32 s0, 0x5dc
	v_sub_f16_sdwa v24, v1, v23 dst_sel:DWORD dst_unused:UNUSED_PAD src0_sel:DWORD src1_sel:WORD_1
	v_pk_fma_f16 v20, v5, 2.0, v22 op_sel_hi:[1,0,1] neg_lo:[0,0,1] neg_hi:[0,0,1]
	v_sub_f16_sdwa v5, v3, v7 dst_sel:DWORD dst_unused:UNUSED_PAD src0_sel:DWORD src1_sel:WORD_1
	v_add_f16_e32 v7, v16, v7
	v_add_co_u32_e32 v12, vcc, s0, v86
	v_fma_f16 v1, v1, 2.0, -v24
	v_fma_f16 v3, v3, 2.0, -v5
	;; [unrolled: 1-line block ×3, first 2 shown]
	v_lshlrev_b32_e32 v39, 4, v12
	v_pack_b32_f16 v23, v5, v7
	v_pack_b32_f16 v21, v3, v16
	v_pack_b32_f16 v3, v24, v25
	v_pack_b32_f16 v1, v1, v26
	buffer_store_dword v40, off, s[20:23], 0 offset:92 ; 4-byte Folded Spill
	v_pk_add_f16 v6, v4, v6 neg_lo:[0,1] neg_hi:[0,1]
	buffer_store_dword v39, off, s[20:23], 0 offset:88 ; 4-byte Folded Spill
	s_waitcnt vmcnt(0)
	s_barrier
	ds_write_b128 v38, v[20:23]
	ds_write_b128 v37, v[0:3]
	v_and_b32_e32 v0, 3, v86
	v_pk_fma_f16 v4, v4, 2.0, v6 op_sel_hi:[1,0,1] neg_lo:[0,0,1] neg_hi:[0,0,1]
	v_pack_b32_f16 v7, v9, v27
	v_pack_b32_f16 v5, v29, v30
	v_pack_b32_f16 v16, v10, v14
	v_pack_b32_f16 v14, v31, v32
	v_pack_b32_f16 v20, v11, v33
	v_pack_b32_f16 v18, v34, v35
	v_lshlrev_b32_e32 v1, 4, v0
	ds_write_b128 v40, v[4:7]
	ds_write_b128 v39, v[13:16]
	ds_write_b128 v36, v[17:20] offset:32000
	s_waitcnt lgkmcnt(0)
	s_barrier
	global_load_dwordx4 v[24:27], v1, s[2:3]
	ds_read_b32 v3, v73 offset:8000
	ds_read_b32 v4, v73
	ds_read_b32 v5, v73 offset:2000
	ds_read_b32 v6, v73 offset:4000
	;; [unrolled: 1-line block ×6, first 2 shown]
	s_waitcnt lgkmcnt(7)
	v_lshrrev_b32_e32 v13, 16, v3
	ds_read_b32 v14, v73 offset:10000
	ds_read_b32 v15, v73 offset:12000
	;; [unrolled: 1-line block ×9, first 2 shown]
	s_waitcnt lgkmcnt(6)
	v_lshrrev_b32_e32 v22, 16, v16
	s_waitcnt lgkmcnt(3)
	v_lshrrev_b32_e32 v29, 16, v19
	v_lshrrev_b32_e32 v35, 16, v14
	ds_read_b32 v30, v73 offset:26000
	ds_read_b32 v31, v73 offset:28000
	;; [unrolled: 1-line block ×3, first 2 shown]
	s_waitcnt lgkmcnt(3)
	v_lshrrev_b32_e32 v33, 16, v23
	v_lshrrev_b32_e32 v36, 16, v17
	s_waitcnt lgkmcnt(2)
	v_lshrrev_b32_e32 v37, 16, v30
	v_lshrrev_b32_e32 v38, 16, v7
	v_lshrrev_b32_e32 v40, 16, v15
	v_lshrrev_b32_e32 v41, 16, v18
	s_waitcnt lgkmcnt(1)
	v_lshrrev_b32_e32 v42, 16, v31
	v_lshrrev_b32_e32 v43, 16, v9
	;; [unrolled: 5-line block ×3, first 2 shown]
	s_movk_i32 s0, 0x3b9c
	s_mov_b32 s13, 0xbb9c
	s_mov_b32 s12, 0xb8b4
	s_movk_i32 s7, 0x34f2
	v_lshrrev_b32_e32 v11, 16, v4
	v_lshrrev_b32_e32 v34, 16, v5
	;; [unrolled: 1-line block ×4, first 2 shown]
	s_waitcnt vmcnt(0)
	s_barrier
	s_mov_b32 s14, 0xcccd
	v_mul_f16_sdwa v48, v13, v24 dst_sel:DWORD dst_unused:UNUSED_PAD src0_sel:DWORD src1_sel:WORD_1
	v_fma_f16 v48, v3, v24, -v48
	v_mul_f16_sdwa v3, v3, v24 dst_sel:DWORD dst_unused:UNUSED_PAD src0_sel:DWORD src1_sel:WORD_1
	v_fma_f16 v3, v13, v24, v3
	v_mul_f16_sdwa v13, v22, v25 dst_sel:DWORD dst_unused:UNUSED_PAD src0_sel:DWORD src1_sel:WORD_1
	v_fma_f16 v13, v16, v25, -v13
	v_mul_f16_sdwa v16, v16, v25 dst_sel:DWORD dst_unused:UNUSED_PAD src0_sel:DWORD src1_sel:WORD_1
	v_fma_f16 v16, v22, v25, v16
	;; [unrolled: 4-line block ×14, first 2 shown]
	v_mul_f16_sdwa v45, v46, v26 dst_sel:DWORD dst_unused:UNUSED_PAD src0_sel:DWORD src1_sel:WORD_1
	v_add_f16_e32 v49, v13, v22
	v_fma_f16 v45, v32, v26, -v45
	v_mul_f16_sdwa v32, v32, v26 dst_sel:DWORD dst_unused:UNUSED_PAD src0_sel:DWORD src1_sel:WORD_1
	v_fma_f16 v49, v49, -0.5, v4
	v_sub_f16_e32 v50, v3, v23
	v_fma_f16 v32, v46, v26, v32
	v_mul_f16_sdwa v46, v47, v27 dst_sel:DWORD dst_unused:UNUSED_PAD src0_sel:DWORD src1_sel:WORD_1
	v_fma_f16 v51, v50, s0, v49
	v_sub_f16_e32 v55, v16, v19
	v_sub_f16_e32 v56, v48, v13
	;; [unrolled: 1-line block ×3, first 2 shown]
	v_fma_f16 v49, v50, s13, v49
	v_fma_f16 v46, v10, v27, -v46
	v_mul_f16_sdwa v10, v10, v27 dst_sel:DWORD dst_unused:UNUSED_PAD src0_sel:DWORD src1_sel:WORD_1
	v_fma_f16 v51, v55, s1, v51
	v_add_f16_e32 v56, v56, v79
	v_fma_f16 v49, v55, s12, v49
	v_fma_f16 v10, v47, v27, v10
	v_add_f16_e32 v47, v4, v48
	v_fma_f16 v51, v56, s7, v51
	v_fma_f16 v49, v56, s7, v49
	v_add_f16_e32 v56, v48, v29
	v_add_f16_e32 v47, v47, v13
	v_fma_f16 v4, v56, -0.5, v4
	v_add_f16_e32 v47, v47, v22
	v_fma_f16 v56, v55, s13, v4
	v_fma_f16 v4, v55, s0, v4
	v_add_f16_e32 v55, v16, v19
	v_add_f16_e32 v47, v47, v29
	v_sub_f16_e32 v79, v13, v48
	v_sub_f16_e32 v80, v22, v29
	v_fma_f16 v55, v55, -0.5, v11
	v_sub_f16_e32 v29, v48, v29
	v_fma_f16 v56, v50, s1, v56
	v_add_f16_e32 v79, v79, v80
	v_fma_f16 v4, v50, s12, v4
	v_fma_f16 v48, v29, s13, v55
	v_sub_f16_e32 v13, v13, v22
	v_fma_f16 v56, v79, s7, v56
	v_fma_f16 v4, v79, s7, v4
	;; [unrolled: 1-line block ×3, first 2 shown]
	v_sub_f16_e32 v48, v3, v16
	v_sub_f16_e32 v79, v23, v19
	v_fma_f16 v55, v29, s0, v55
	v_add_f16_e32 v48, v48, v79
	v_fma_f16 v55, v13, s1, v55
	v_fma_f16 v22, v48, s7, v22
	;; [unrolled: 1-line block ×3, first 2 shown]
	v_add_f16_e32 v55, v3, v23
	v_add_f16_e32 v50, v11, v3
	v_fma_f16 v11, v55, -0.5, v11
	v_add_f16_e32 v50, v50, v16
	v_fma_f16 v55, v13, s0, v11
	v_sub_f16_e32 v3, v16, v3
	v_sub_f16_e32 v16, v19, v23
	v_fma_f16 v11, v13, s13, v11
	v_add_f16_e32 v13, v35, v36
	v_add_f16_e32 v50, v50, v19
	v_fma_f16 v55, v29, s12, v55
	v_add_f16_e32 v3, v3, v16
	v_fma_f16 v13, v13, -0.5, v5
	v_sub_f16_e32 v19, v14, v7
	v_add_f16_e32 v50, v50, v23
	v_fma_f16 v16, v3, s7, v55
	v_fma_f16 v11, v29, s1, v11
	;; [unrolled: 1-line block ×3, first 2 shown]
	v_sub_f16_e32 v29, v17, v30
	v_sub_f16_e32 v55, v33, v35
	v_sub_f16_e32 v79, v37, v36
	v_fma_f16 v13, v19, s13, v13
	v_fma_f16 v23, v29, s1, v23
	v_add_f16_e32 v55, v55, v79
	v_fma_f16 v13, v29, s12, v13
	v_fma_f16 v23, v55, s7, v23
	;; [unrolled: 1-line block ×3, first 2 shown]
	v_add_f16_e32 v55, v33, v37
	v_fma_f16 v3, v3, s7, v11
	v_add_f16_e32 v11, v5, v33
	v_fma_f16 v5, v55, -0.5, v5
	v_add_f16_e32 v11, v11, v35
	v_fma_f16 v55, v29, s13, v5
	v_fma_f16 v5, v29, s0, v5
	v_add_f16_e32 v29, v17, v30
	v_add_f16_e32 v11, v11, v36
	v_sub_f16_e32 v79, v35, v33
	v_sub_f16_e32 v80, v36, v37
	v_fma_f16 v29, v29, -0.5, v34
	v_sub_f16_e32 v33, v33, v37
	v_add_f16_e32 v11, v11, v37
	v_fma_f16 v55, v19, s1, v55
	v_add_f16_e32 v79, v79, v80
	v_fma_f16 v5, v19, s12, v5
	v_fma_f16 v37, v33, s13, v29
	v_sub_f16_e32 v35, v35, v36
	v_fma_f16 v55, v79, s7, v55
	v_fma_f16 v5, v79, s7, v5
	;; [unrolled: 1-line block ×3, first 2 shown]
	v_sub_f16_e32 v37, v14, v17
	v_sub_f16_e32 v79, v7, v30
	v_fma_f16 v29, v33, s0, v29
	v_add_f16_e32 v19, v34, v14
	v_add_f16_e32 v37, v37, v79
	v_fma_f16 v29, v35, s1, v29
	v_add_f16_e32 v19, v19, v17
	v_fma_f16 v36, v37, s7, v36
	v_fma_f16 v29, v37, s7, v29
	v_add_f16_e32 v37, v14, v7
	v_add_f16_e32 v19, v19, v30
	v_fma_f16 v34, v37, -0.5, v34
	v_add_f16_e32 v19, v19, v7
	v_fma_f16 v37, v35, s0, v34
	v_sub_f16_e32 v14, v17, v14
	v_sub_f16_e32 v7, v30, v7
	v_fma_f16 v17, v35, s13, v34
	v_add_f16_e32 v30, v40, v41
	v_fma_f16 v37, v33, s12, v37
	v_add_f16_e32 v7, v14, v7
	v_fma_f16 v17, v33, s1, v17
	v_fma_f16 v30, v30, -0.5, v6
	v_sub_f16_e32 v33, v15, v9
	v_fma_f16 v14, v7, s7, v37
	v_fma_f16 v34, v33, s0, v30
	v_sub_f16_e32 v35, v18, v31
	v_sub_f16_e32 v37, v38, v40
	;; [unrolled: 1-line block ×3, first 2 shown]
	v_fma_f16 v30, v33, s13, v30
	v_fma_f16 v34, v35, s1, v34
	v_add_f16_e32 v37, v37, v79
	v_fma_f16 v30, v35, s12, v30
	v_fma_f16 v34, v37, s7, v34
	;; [unrolled: 1-line block ×3, first 2 shown]
	v_add_f16_e32 v37, v38, v42
	v_fma_f16 v7, v7, s7, v17
	v_add_f16_e32 v17, v6, v38
	v_fma_f16 v6, v37, -0.5, v6
	v_add_f16_e32 v17, v17, v40
	v_fma_f16 v37, v35, s13, v6
	v_fma_f16 v6, v35, s0, v6
	v_add_f16_e32 v35, v18, v31
	v_add_f16_e32 v17, v17, v41
	v_sub_f16_e32 v79, v40, v38
	v_sub_f16_e32 v80, v41, v42
	v_fma_f16 v35, v35, -0.5, v39
	v_sub_f16_e32 v38, v38, v42
	v_add_f16_e32 v17, v17, v42
	v_fma_f16 v37, v33, s1, v37
	v_add_f16_e32 v79, v79, v80
	v_fma_f16 v6, v33, s12, v6
	v_fma_f16 v42, v38, s13, v35
	v_sub_f16_e32 v40, v40, v41
	v_fma_f16 v37, v79, s7, v37
	v_fma_f16 v6, v79, s7, v6
	v_fma_f16 v41, v40, s12, v42
	v_sub_f16_e32 v42, v15, v18
	v_sub_f16_e32 v79, v9, v31
	v_fma_f16 v35, v38, s0, v35
	v_add_f16_e32 v33, v39, v15
	v_add_f16_e32 v42, v42, v79
	v_fma_f16 v35, v40, s1, v35
	v_add_f16_e32 v33, v33, v18
	v_fma_f16 v41, v42, s7, v41
	v_fma_f16 v35, v42, s7, v35
	v_add_f16_e32 v42, v15, v9
	v_add_f16_e32 v33, v33, v31
	v_fma_f16 v39, v42, -0.5, v39
	v_add_f16_e32 v33, v33, v9
	v_fma_f16 v42, v40, s0, v39
	v_sub_f16_e32 v15, v18, v15
	v_sub_f16_e32 v9, v31, v9
	v_fma_f16 v18, v40, s13, v39
	v_add_f16_e32 v31, v44, v45
	v_fma_f16 v42, v38, s12, v42
	v_add_f16_e32 v9, v15, v9
	v_fma_f16 v18, v38, s1, v18
	v_fma_f16 v31, v31, -0.5, v1
	v_sub_f16_e32 v38, v21, v10
	v_fma_f16 v15, v9, s7, v42
	v_fma_f16 v39, v38, s0, v31
	v_sub_f16_e32 v40, v20, v32
	v_sub_f16_e32 v42, v43, v44
	;; [unrolled: 1-line block ×3, first 2 shown]
	v_fma_f16 v31, v38, s13, v31
	v_fma_f16 v39, v40, s1, v39
	v_add_f16_e32 v42, v42, v79
	v_fma_f16 v31, v40, s12, v31
	v_fma_f16 v39, v42, s7, v39
	;; [unrolled: 1-line block ×3, first 2 shown]
	v_add_f16_e32 v42, v43, v46
	v_fma_f16 v9, v9, s7, v18
	v_add_f16_e32 v18, v1, v43
	v_fma_f16 v1, v42, -0.5, v1
	v_add_f16_e32 v18, v18, v44
	v_fma_f16 v42, v40, s13, v1
	v_fma_f16 v1, v40, s0, v1
	v_add_f16_e32 v40, v20, v32
	v_add_f16_e32 v18, v18, v45
	v_sub_f16_e32 v79, v44, v43
	v_sub_f16_e32 v80, v45, v46
	v_fma_f16 v40, v40, -0.5, v2
	v_sub_f16_e32 v43, v43, v46
	v_add_f16_e32 v18, v18, v46
	v_fma_f16 v42, v38, s1, v42
	v_add_f16_e32 v79, v79, v80
	v_fma_f16 v1, v38, s12, v1
	v_fma_f16 v46, v43, s13, v40
	v_sub_f16_e32 v44, v44, v45
	v_fma_f16 v42, v79, s7, v42
	v_fma_f16 v1, v79, s7, v1
	v_fma_f16 v45, v44, s12, v46
	v_sub_f16_e32 v46, v21, v20
	v_sub_f16_e32 v79, v10, v32
	v_fma_f16 v40, v43, s0, v40
	v_add_f16_e32 v38, v2, v21
	v_add_f16_e32 v46, v46, v79
	v_fma_f16 v40, v44, s1, v40
	v_add_f16_e32 v38, v38, v20
	v_fma_f16 v45, v46, s7, v45
	v_fma_f16 v40, v46, s7, v40
	v_add_f16_e32 v46, v21, v10
	v_add_f16_e32 v38, v38, v32
	v_fma_f16 v2, v46, -0.5, v2
	v_add_f16_e32 v38, v38, v10
	v_fma_f16 v46, v44, s0, v2
	v_sub_f16_e32 v20, v20, v21
	v_sub_f16_e32 v10, v32, v10
	v_fma_f16 v2, v44, s13, v2
	v_fma_f16 v46, v43, s12, v46
	v_add_f16_e32 v10, v20, v10
	v_fma_f16 v2, v43, s1, v2
	v_fma_f16 v20, v10, s7, v46
	;; [unrolled: 1-line block ×3, first 2 shown]
	v_lshrrev_b32_e32 v10, 2, v86
	v_mul_u32_u24_e32 v10, 20, v10
	v_or_b32_e32 v10, v10, v0
	v_lshlrev_b32_e32 v32, 2, v10
	v_pack_b32_f16 v10, v47, v50
	v_pack_b32_f16 v21, v51, v22
	ds_write2_b32 v32, v10, v21 offset1:4
	v_pack_b32_f16 v10, v56, v16
	v_pack_b32_f16 v3, v4, v3
	ds_write2_b32 v32, v10, v3 offset0:8 offset1:12
	v_pack_b32_f16 v3, v49, v48
	ds_write_b32 v32, v3 offset:64
	v_lshrrev_b32_e32 v3, 2, v28
	v_mul_u32_u24_e32 v3, 20, v3
	v_or_b32_e32 v3, v3, v0
	v_lshlrev_b32_e32 v10, 2, v3
	v_pack_b32_f16 v3, v11, v19
	v_pack_b32_f16 v4, v23, v36
	ds_write2_b32 v10, v3, v4 offset1:4
	v_pack_b32_f16 v3, v55, v14
	v_pack_b32_f16 v4, v5, v7
	ds_write2_b32 v10, v3, v4 offset0:8 offset1:12
	v_pack_b32_f16 v3, v13, v29
	ds_write_b32 v10, v3 offset:64
	;; [unrolled: 12-line block ×4, first 2 shown]
	v_mul_u32_u24_e32 v0, 0xcccd, v86
	v_lshrrev_b32_e32 v16, 20, v0
	v_mul_lo_u16_e32 v0, 20, v16
	v_sub_u16_e32 v17, v86, v0
	v_lshlrev_b16_e32 v0, 4, v17
	v_mov_b32_e32 v29, s3
	v_add_co_u32_e32 v0, vcc, s2, v0
	v_addc_co_u32_e32 v1, vcc, 0, v29, vcc
	buffer_store_dword v32, off, s[20:23], 0 offset:84 ; 4-byte Folded Spill
	buffer_store_dword v10, off, s[20:23], 0 offset:80 ; 4-byte Folded Spill
	;; [unrolled: 1-line block ×4, first 2 shown]
	s_waitcnt vmcnt(0) lgkmcnt(0)
	s_barrier
	global_load_dwordx4 v[74:77], v[0:1], off offset:64
	v_mul_u32_u24_sdwa v4, v28, s14 dst_sel:DWORD dst_unused:UNUSED_PAD src0_sel:WORD_0 src1_sel:DWORD
	v_lshrrev_b32_e32 v18, 20, v4
	v_mul_lo_u16_e32 v4, 20, v18
	v_sub_u16_e32 v19, v28, v4
	v_lshlrev_b16_e32 v4, 4, v19
	v_add_co_u32_e32 v4, vcc, s2, v4
	v_addc_co_u32_e32 v5, vcc, 0, v29, vcc
	global_load_dwordx4 v[69:72], v[4:5], off offset:64
	v_mul_u32_u24_sdwa v9, v8, s14 dst_sel:DWORD dst_unused:UNUSED_PAD src0_sel:WORD_0 src1_sel:DWORD
	v_lshrrev_b32_e32 v20, 20, v9
	v_mul_lo_u16_e32 v9, 20, v20
	v_sub_u16_e32 v21, v8, v9
	v_lshlrev_b16_e32 v8, 4, v21
	v_add_co_u32_e32 v8, vcc, s2, v8
	v_addc_co_u32_e32 v9, vcc, 0, v29, vcc
	ds_read_b32 v33, v73
	ds_read_b32 v34, v73 offset:2000
	ds_read_b32 v31, v73 offset:4000
	global_load_dwordx4 v[65:68], v[8:9], off offset:64
	v_mul_u32_u24_sdwa v13, v12, s14 dst_sel:DWORD dst_unused:UNUSED_PAD src0_sel:WORD_0 src1_sel:DWORD
	v_lshrrev_b32_e32 v22, 20, v13
	v_mul_lo_u16_e32 v13, 20, v22
	v_sub_u16_e32 v23, v12, v13
	v_lshlrev_b16_e32 v12, 4, v23
	v_add_co_u32_e32 v12, vcc, s2, v12
	v_addc_co_u32_e32 v13, vcc, 0, v29, vcc
	ds_read_b32 v35, v73 offset:34000
	ds_read_b32 v36, v73 offset:36000
	;; [unrolled: 1-line block ×5, first 2 shown]
	global_load_dwordx4 v[61:64], v[12:13], off offset:64
	ds_read_b32 v41, v73 offset:10000
	ds_read_b32 v42, v73 offset:12000
	ds_read_b32 v43, v73 offset:16000
	ds_read_b32 v44, v73 offset:18000
	ds_read_b32 v45, v73 offset:20000
	ds_read_b32 v46, v73 offset:24000
	ds_read_b32 v47, v73 offset:22000
	ds_read_b32 v48, v73 offset:14000
	s_waitcnt lgkmcnt(10)
	v_lshrrev_b32_e32 v40, 16, v37
	ds_read_b32 v50, v73 offset:32000
	s_waitcnt lgkmcnt(6)
	v_lshrrev_b32_e32 v49, 16, v43
	s_waitcnt lgkmcnt(3)
	v_lshrrev_b32_e32 v51, 16, v46
	v_lshrrev_b32_e32 v82, 16, v41
	ds_read_b32 v55, v73 offset:26000
	ds_read_b32 v56, v73 offset:28000
	;; [unrolled: 1-line block ×3, first 2 shown]
	s_waitcnt lgkmcnt(3)
	v_lshrrev_b32_e32 v80, 16, v50
	v_lshrrev_b32_e32 v83, 16, v44
	s_waitcnt lgkmcnt(2)
	v_lshrrev_b32_e32 v89, 16, v55
	v_lshrrev_b32_e32 v96, 16, v35
	v_lshrrev_b32_e32 v98, 16, v42
	v_lshrrev_b32_e32 v99, 16, v45
	s_waitcnt lgkmcnt(1)
	v_lshrrev_b32_e32 v100, 16, v56
	v_lshrrev_b32_e32 v101, 16, v36
	;; [unrolled: 5-line block ×3, first 2 shown]
	v_lshrrev_b32_e32 v39, 16, v33
	v_lshrrev_b32_e32 v81, 16, v34
	v_lshrrev_b32_e32 v97, 16, v31
	v_lshrrev_b32_e32 v32, 16, v30
	s_movk_i32 s14, 0x64
	v_mad_legacy_u16 v16, v16, s14, v17
	s_waitcnt vmcnt(0)
	s_barrier
	v_mul_f16_sdwa v106, v40, v74 dst_sel:DWORD dst_unused:UNUSED_PAD src0_sel:DWORD src1_sel:WORD_1
	v_fma_f16 v106, v37, v74, -v106
	v_mul_f16_sdwa v37, v37, v74 dst_sel:DWORD dst_unused:UNUSED_PAD src0_sel:DWORD src1_sel:WORD_1
	v_fma_f16 v37, v40, v74, v37
	v_mul_f16_sdwa v40, v49, v75 dst_sel:DWORD dst_unused:UNUSED_PAD src0_sel:DWORD src1_sel:WORD_1
	v_fma_f16 v40, v43, v75, -v40
	v_mul_f16_sdwa v43, v43, v75 dst_sel:DWORD dst_unused:UNUSED_PAD src0_sel:DWORD src1_sel:WORD_1
	v_fma_f16 v43, v49, v75, v43
	;; [unrolled: 4-line block ×14, first 2 shown]
	v_mul_f16_sdwa v103, v104, v63 dst_sel:DWORD dst_unused:UNUSED_PAD src0_sel:DWORD src1_sel:WORD_1
	v_add_f16_e32 v107, v40, v49
	v_fma_f16 v103, v79, v63, -v103
	v_mul_f16_sdwa v79, v79, v63 dst_sel:DWORD dst_unused:UNUSED_PAD src0_sel:DWORD src1_sel:WORD_1
	v_fma_f16 v107, v107, -0.5, v33
	v_sub_f16_e32 v108, v37, v50
	v_fma_f16 v79, v104, v63, v79
	v_mul_f16_sdwa v104, v105, v64 dst_sel:DWORD dst_unused:UNUSED_PAD src0_sel:DWORD src1_sel:WORD_1
	v_fma_f16 v109, v108, s0, v107
	v_sub_f16_e32 v110, v43, v46
	v_sub_f16_e32 v111, v106, v40
	;; [unrolled: 1-line block ×3, first 2 shown]
	v_fma_f16 v107, v108, s13, v107
	v_fma_f16 v104, v38, v64, -v104
	v_mul_f16_sdwa v38, v38, v64 dst_sel:DWORD dst_unused:UNUSED_PAD src0_sel:DWORD src1_sel:WORD_1
	v_fma_f16 v109, v110, s1, v109
	v_add_f16_e32 v111, v111, v112
	v_fma_f16 v107, v110, s12, v107
	v_fma_f16 v38, v105, v64, v38
	v_add_f16_e32 v105, v33, v106
	v_fma_f16 v109, v111, s7, v109
	v_fma_f16 v107, v111, s7, v107
	v_add_f16_e32 v111, v106, v51
	v_add_f16_e32 v105, v105, v40
	v_fma_f16 v33, v111, -0.5, v33
	v_add_f16_e32 v105, v105, v49
	v_fma_f16 v111, v110, s13, v33
	v_fma_f16 v33, v110, s0, v33
	v_add_f16_e32 v110, v43, v46
	v_add_f16_e32 v105, v105, v51
	v_sub_f16_e32 v112, v40, v106
	v_sub_f16_e32 v113, v49, v51
	v_fma_f16 v110, v110, -0.5, v39
	v_sub_f16_e32 v51, v106, v51
	v_fma_f16 v111, v108, s1, v111
	v_add_f16_e32 v112, v112, v113
	v_fma_f16 v33, v108, s12, v33
	v_fma_f16 v106, v51, s13, v110
	v_sub_f16_e32 v40, v40, v49
	v_fma_f16 v111, v112, s7, v111
	v_fma_f16 v33, v112, s7, v33
	;; [unrolled: 1-line block ×3, first 2 shown]
	v_sub_f16_e32 v106, v37, v43
	v_sub_f16_e32 v112, v50, v46
	v_fma_f16 v110, v51, s0, v110
	v_add_f16_e32 v106, v106, v112
	v_fma_f16 v110, v40, s1, v110
	v_fma_f16 v49, v106, s7, v49
	;; [unrolled: 1-line block ×3, first 2 shown]
	v_add_f16_e32 v110, v37, v50
	v_add_f16_e32 v108, v39, v37
	v_fma_f16 v39, v110, -0.5, v39
	v_add_f16_e32 v108, v108, v43
	v_fma_f16 v110, v40, s0, v39
	v_sub_f16_e32 v37, v43, v37
	v_sub_f16_e32 v43, v46, v50
	v_fma_f16 v39, v40, s13, v39
	v_add_f16_e32 v40, v82, v83
	v_add_f16_e32 v108, v108, v46
	v_fma_f16 v110, v51, s12, v110
	v_add_f16_e32 v37, v37, v43
	v_fma_f16 v40, v40, -0.5, v34
	v_sub_f16_e32 v46, v41, v35
	v_add_f16_e32 v108, v108, v50
	v_fma_f16 v43, v37, s7, v110
	v_fma_f16 v39, v51, s1, v39
	v_fma_f16 v50, v46, s0, v40
	v_sub_f16_e32 v51, v44, v55
	v_sub_f16_e32 v110, v80, v82
	;; [unrolled: 1-line block ×3, first 2 shown]
	v_fma_f16 v40, v46, s13, v40
	v_fma_f16 v50, v51, s1, v50
	v_add_f16_e32 v110, v110, v112
	v_fma_f16 v40, v51, s12, v40
	v_fma_f16 v50, v110, s7, v50
	;; [unrolled: 1-line block ×3, first 2 shown]
	v_add_f16_e32 v110, v80, v89
	v_fma_f16 v37, v37, s7, v39
	v_add_f16_e32 v39, v34, v80
	v_fma_f16 v34, v110, -0.5, v34
	v_add_f16_e32 v39, v39, v82
	v_fma_f16 v110, v51, s13, v34
	v_fma_f16 v34, v51, s0, v34
	v_add_f16_e32 v51, v44, v55
	v_add_f16_e32 v39, v39, v83
	v_sub_f16_e32 v112, v82, v80
	v_sub_f16_e32 v113, v83, v89
	v_fma_f16 v51, v51, -0.5, v81
	v_sub_f16_e32 v80, v80, v89
	v_add_f16_e32 v39, v39, v89
	v_fma_f16 v110, v46, s1, v110
	v_add_f16_e32 v112, v112, v113
	v_fma_f16 v34, v46, s12, v34
	v_fma_f16 v89, v80, s13, v51
	v_sub_f16_e32 v82, v82, v83
	v_fma_f16 v110, v112, s7, v110
	v_fma_f16 v34, v112, s7, v34
	;; [unrolled: 1-line block ×3, first 2 shown]
	v_sub_f16_e32 v89, v41, v44
	v_sub_f16_e32 v112, v35, v55
	v_fma_f16 v51, v80, s0, v51
	v_add_f16_e32 v46, v81, v41
	v_add_f16_e32 v89, v89, v112
	v_fma_f16 v51, v82, s1, v51
	v_add_f16_e32 v46, v46, v44
	v_fma_f16 v83, v89, s7, v83
	v_fma_f16 v51, v89, s7, v51
	v_add_f16_e32 v89, v41, v35
	v_add_f16_e32 v46, v46, v55
	v_fma_f16 v81, v89, -0.5, v81
	v_add_f16_e32 v46, v46, v35
	v_fma_f16 v89, v82, s0, v81
	v_sub_f16_e32 v41, v44, v41
	v_sub_f16_e32 v35, v55, v35
	v_fma_f16 v44, v82, s13, v81
	v_add_f16_e32 v55, v98, v99
	v_fma_f16 v89, v80, s12, v89
	v_add_f16_e32 v35, v41, v35
	v_fma_f16 v44, v80, s1, v44
	v_fma_f16 v55, v55, -0.5, v31
	v_sub_f16_e32 v80, v42, v36
	v_fma_f16 v41, v35, s7, v89
	v_fma_f16 v81, v80, s0, v55
	v_sub_f16_e32 v82, v45, v56
	v_sub_f16_e32 v89, v96, v98
	;; [unrolled: 1-line block ×3, first 2 shown]
	v_fma_f16 v81, v82, s1, v81
	v_add_f16_e32 v89, v89, v112
	v_fma_f16 v112, v89, s7, v81
	v_add_f16_e32 v81, v96, v100
	;; [unrolled: 2-line block ×3, first 2 shown]
	v_fma_f16 v31, v81, -0.5, v31
	v_fma_f16 v55, v80, s13, v55
	v_fma_f16 v81, v82, s13, v31
	;; [unrolled: 1-line block ×6, first 2 shown]
	v_add_f16_e32 v80, v97, v42
	v_fma_f16 v55, v89, s7, v55
	v_sub_f16_e32 v89, v98, v96
	v_sub_f16_e32 v113, v99, v100
	v_add_f16_e32 v80, v80, v45
	v_add_f16_e32 v89, v89, v113
	;; [unrolled: 1-line block ×3, first 2 shown]
	v_fma_f16 v113, v89, s7, v81
	v_fma_f16 v31, v89, s7, v31
	v_add_f16_e32 v89, v80, v36
	v_add_f16_e32 v80, v45, v56
	;; [unrolled: 1-line block ×3, first 2 shown]
	v_fma_f16 v80, v80, -0.5, v97
	v_sub_f16_e32 v81, v96, v100
	v_add_f16_e32 v44, v44, v99
	v_fma_f16 v82, v81, s13, v80
	v_sub_f16_e32 v96, v98, v99
	v_sub_f16_e32 v98, v42, v45
	v_sub_f16_e32 v99, v36, v56
	v_fma_f16 v80, v81, s0, v80
	v_fma_f16 v82, v96, s12, v82
	v_add_f16_e32 v98, v98, v99
	v_fma_f16 v80, v96, s1, v80
	v_fma_f16 v99, v98, s7, v82
	;; [unrolled: 1-line block ×3, first 2 shown]
	v_add_f16_e32 v80, v42, v36
	v_fma_f16 v80, v80, -0.5, v97
	v_fma_f16 v82, v96, s0, v80
	v_sub_f16_e32 v42, v45, v42
	v_sub_f16_e32 v36, v56, v36
	v_add_f16_e32 v56, v102, v103
	v_fma_f16 v82, v81, s12, v82
	v_add_f16_e32 v36, v42, v36
	v_fma_f16 v45, v96, s13, v80
	v_fma_f16 v56, v56, -0.5, v30
	v_sub_f16_e32 v80, v48, v38
	v_fma_f16 v42, v36, s7, v82
	v_fma_f16 v45, v81, s1, v45
	;; [unrolled: 1-line block ×3, first 2 shown]
	v_sub_f16_e32 v82, v47, v79
	v_sub_f16_e32 v96, v101, v102
	v_sub_f16_e32 v97, v104, v103
	v_fma_f16 v81, v82, s1, v81
	v_add_f16_e32 v96, v96, v97
	v_fma_f16 v97, v96, s7, v81
	v_add_f16_e32 v81, v101, v104
	;; [unrolled: 2-line block ×3, first 2 shown]
	v_fma_f16 v30, v81, -0.5, v30
	v_fma_f16 v56, v80, s13, v56
	v_fma_f16 v81, v82, s13, v30
	;; [unrolled: 1-line block ×6, first 2 shown]
	v_add_f16_e32 v80, v32, v48
	v_add_f16_e32 v44, v44, v100
	v_fma_f16 v56, v96, s7, v56
	v_sub_f16_e32 v96, v102, v101
	v_sub_f16_e32 v100, v103, v104
	v_add_f16_e32 v80, v80, v47
	v_add_f16_e32 v96, v96, v100
	;; [unrolled: 1-line block ×3, first 2 shown]
	v_fma_f16 v100, v96, s7, v81
	v_fma_f16 v30, v96, s7, v30
	v_add_f16_e32 v96, v80, v38
	v_add_f16_e32 v80, v47, v79
	;; [unrolled: 1-line block ×3, first 2 shown]
	v_fma_f16 v80, v80, -0.5, v32
	v_sub_f16_e32 v81, v101, v104
	v_add_f16_e32 v45, v45, v103
	v_fma_f16 v82, v81, s13, v80
	v_sub_f16_e32 v101, v102, v103
	v_sub_f16_e32 v102, v48, v47
	v_sub_f16_e32 v103, v38, v79
	v_fma_f16 v80, v81, s0, v80
	v_fma_f16 v82, v101, s12, v82
	v_add_f16_e32 v102, v102, v103
	v_fma_f16 v80, v101, s1, v80
	v_fma_f16 v103, v102, s7, v82
	;; [unrolled: 1-line block ×3, first 2 shown]
	v_add_f16_e32 v80, v48, v38
	v_fma_f16 v32, v80, -0.5, v32
	v_fma_f16 v80, v101, s0, v32
	v_sub_f16_e32 v47, v47, v48
	v_sub_f16_e32 v38, v79, v38
	v_fma_f16 v80, v81, s12, v80
	v_add_f16_e32 v38, v47, v38
	v_fma_f16 v47, v38, s7, v80
	v_lshlrev_b32_e32 v80, 2, v16
	v_pack_b32_f16 v16, v105, v108
	v_pack_b32_f16 v17, v109, v49
	ds_write2_b32 v80, v16, v17 offset1:20
	v_pack_b32_f16 v16, v111, v43
	v_pack_b32_f16 v17, v33, v37
	ds_write2_b32 v80, v16, v17 offset0:40 offset1:60
	v_pack_b32_f16 v16, v107, v106
	v_fma_f16 v32, v101, s13, v32
	ds_write_b32 v80, v16 offset:320
	v_mad_legacy_u16 v16, v18, s14, v19
	v_fma_f16 v32, v81, s1, v32
	v_lshlrev_b32_e32 v81, 2, v16
	v_pack_b32_f16 v16, v39, v46
	v_pack_b32_f16 v17, v50, v83
	ds_write2_b32 v81, v16, v17 offset1:20
	v_pack_b32_f16 v16, v110, v41
	v_pack_b32_f16 v17, v34, v35
	ds_write2_b32 v81, v16, v17 offset0:40 offset1:60
	v_pack_b32_f16 v16, v40, v51
	ds_write_b32 v81, v16 offset:320
	v_mad_legacy_u16 v16, v20, s14, v21
	v_lshlrev_b32_e32 v82, 2, v16
	v_pack_b32_f16 v16, v44, v89
	v_pack_b32_f16 v17, v112, v99
	ds_write2_b32 v82, v16, v17 offset1:20
	v_pack_b32_f16 v16, v113, v42
	v_pack_b32_f16 v17, v31, v36
	ds_write2_b32 v82, v16, v17 offset0:40 offset1:60
	v_pack_b32_f16 v16, v55, v98
	v_add_f16_e32 v45, v45, v104
	ds_write_b32 v82, v16 offset:320
	v_mad_legacy_u16 v16, v22, s14, v23
	v_fma_f16 v32, v38, s7, v32
	v_lshlrev_b32_e32 v83, 2, v16
	v_pack_b32_f16 v16, v45, v96
	v_pack_b32_f16 v17, v97, v103
	ds_write2_b32 v83, v16, v17 offset1:20
	v_pack_b32_f16 v16, v100, v47
	v_pack_b32_f16 v17, v30, v32
	ds_write2_b32 v83, v16, v17 offset0:40 offset1:60
	v_pack_b32_f16 v16, v56, v102
	ds_write_b32 v83, v16 offset:320
	v_lshrrev_b16_e32 v16, 2, v86
	v_mul_u32_u24_e32 v16, 0x147b, v16
	v_lshrrev_b32_e32 v36, 17, v16
	v_mul_lo_u16_e32 v16, 0x64, v36
	v_sub_u16_e32 v37, v86, v16
	v_mul_lo_u16_e32 v16, 36, v37
	v_add_co_u32_e32 v30, vcc, s2, v16
	v_addc_co_u32_e32 v31, vcc, 0, v29, vcc
	s_waitcnt lgkmcnt(0)
	s_barrier
	global_load_dwordx4 v[57:60], v[30:31], off offset:384
	global_load_dwordx4 v[20:23], v[30:31], off offset:400
	global_load_dword v79, v[30:31], off offset:416
	v_lshrrev_b16_e32 v30, 2, v28
	v_mul_u32_u24_e32 v30, 0x147b, v30
	v_lshrrev_b32_e32 v34, 17, v30
	v_mul_lo_u16_e32 v30, 0x64, v34
	v_sub_u16_e32 v35, v28, v30
	ds_read_b32 v28, v73 offset:4000
	v_mul_lo_u16_e32 v30, 36, v35
	v_add_co_u32_e32 v32, vcc, s2, v30
	v_addc_co_u32_e32 v33, vcc, 0, v29, vcc
	ds_read_b32 v29, v73 offset:8000
	ds_read_b32 v39, v73 offset:6000
	;; [unrolled: 1-line block ×3, first 2 shown]
	s_waitcnt lgkmcnt(3)
	v_lshrrev_b32_e32 v30, 16, v28
	ds_read_b32 v31, v73 offset:12000
	ds_read_b32 v40, v73 offset:16000
	s_waitcnt lgkmcnt(4)
	v_lshrrev_b32_e32 v41, 16, v29
	ds_read_b32 v42, v73 offset:24000
	ds_read_b32 v44, v73 offset:22000
	;; [unrolled: 1-line block ×7, first 2 shown]
	s_waitcnt lgkmcnt(8)
	v_lshrrev_b32_e32 v48, 16, v31
	s_waitcnt lgkmcnt(7)
	v_lshrrev_b32_e32 v49, 16, v40
	;; [unrolled: 2-line block ×3, first 2 shown]
	ds_read_b32 v55, v73 offset:36000
	ds_read_b32 v56, v73 offset:32000
	v_lshrrev_b32_e32 v89, 16, v42
	s_waitcnt lgkmcnt(2)
	v_lshrrev_b32_e32 v98, 16, v50
	ds_read_b32 v96, v73 offset:30000
	ds_read_b32 v97, v73 offset:26000
	s_waitcnt lgkmcnt(3)
	v_lshrrev_b32_e32 v103, 16, v55
	s_waitcnt lgkmcnt(2)
	v_lshrrev_b32_e32 v99, 16, v56
	ds_read_b32 v100, v73
	ds_read_b32 v101, v73 offset:38000
	ds_read_b32 v102, v73 offset:34000
	s_movk_i32 s14, 0x3a79
	v_mad_legacy_u16 v36, v36, s15, v37
	s_waitcnt lgkmcnt(2)
	v_lshrrev_b32_e32 v117, 16, v100
	s_waitcnt vmcnt(2)
	v_mul_f16_sdwa v104, v30, v57 dst_sel:DWORD dst_unused:UNUSED_PAD src0_sel:DWORD src1_sel:WORD_1
	v_fma_f16 v104, v28, v57, -v104
	v_mul_f16_sdwa v28, v28, v57 dst_sel:DWORD dst_unused:UNUSED_PAD src0_sel:DWORD src1_sel:WORD_1
	v_fma_f16 v106, v30, v57, v28
	v_mul_f16_sdwa v28, v41, v58 dst_sel:DWORD dst_unused:UNUSED_PAD src0_sel:DWORD src1_sel:WORD_1
	v_fma_f16 v107, v29, v58, -v28
	v_mul_f16_sdwa v28, v29, v58 dst_sel:DWORD dst_unused:UNUSED_PAD src0_sel:DWORD src1_sel:WORD_1
	v_fma_f16 v108, v41, v58, v28
	;; [unrolled: 4-line block ×4, first 2 shown]
	s_waitcnt vmcnt(1)
	v_mul_f16_sdwa v28, v51, v20 dst_sel:DWORD dst_unused:UNUSED_PAD src0_sel:DWORD src1_sel:WORD_1
	v_fma_f16 v111, v43, v20, -v28
	v_mul_f16_sdwa v28, v43, v20 dst_sel:DWORD dst_unused:UNUSED_PAD src0_sel:DWORD src1_sel:WORD_1
	v_fma_f16 v51, v51, v20, v28
	v_mul_f16_sdwa v28, v89, v21 dst_sel:DWORD dst_unused:UNUSED_PAD src0_sel:DWORD src1_sel:WORD_1
	v_fma_f16 v112, v42, v21, -v28
	v_mul_f16_sdwa v28, v42, v21 dst_sel:DWORD dst_unused:UNUSED_PAD src0_sel:DWORD src1_sel:WORD_1
	v_fma_f16 v113, v89, v21, v28
	;; [unrolled: 4-line block ×3, first 2 shown]
	v_mul_f16_sdwa v28, v99, v23 dst_sel:DWORD dst_unused:UNUSED_PAD src0_sel:DWORD src1_sel:WORD_1
	v_fma_f16 v98, v56, v23, -v28
	v_mul_f16_sdwa v28, v56, v23 dst_sel:DWORD dst_unused:UNUSED_PAD src0_sel:DWORD src1_sel:WORD_1
	s_waitcnt vmcnt(0)
	v_mul_f16_sdwa v40, v103, v79 dst_sel:DWORD dst_unused:UNUSED_PAD src0_sel:DWORD src1_sel:WORD_1
	v_fma_f16 v56, v99, v23, v28
	v_fma_f16 v99, v55, v79, -v40
	v_mul_f16_sdwa v40, v55, v79 dst_sel:DWORD dst_unused:UNUSED_PAD src0_sel:DWORD src1_sel:WORD_1
	v_fma_f16 v55, v103, v79, v40
	v_sub_f16_e32 v40, v107, v110
	v_sub_f16_e32 v41, v98, v112
	v_add_f16_e32 v103, v40, v41
	v_add_f16_e32 v40, v100, v107
	v_add_f16_e32 v40, v40, v110
	v_add_f16_e32 v40, v40, v112
	v_add_f16_e32 v115, v40, v98
	v_sub_f16_e32 v40, v108, v49
	v_sub_f16_e32 v41, v56, v113
	v_add_f16_e32 v116, v40, v41
	v_sub_f16_e32 v40, v109, v111
	v_sub_f16_e32 v41, v99, v114
	v_add_f16_e32 v118, v40, v41
	;; [unrolled: 3-line block ×3, first 2 shown]
	v_add_f16_e32 v41, v51, v50
	v_add_f16_e32 v40, v111, v114
	v_sub_f16_e32 v122, v109, v99
	v_fma_f16 v125, v41, -0.5, v106
	v_fma_f16 v119, v40, -0.5, v104
	v_sub_f16_e32 v120, v48, v55
	v_sub_f16_e32 v123, v111, v114
	v_fma_f16 v41, v122, s13, v125
	v_fma_f16 v40, v120, s0, v119
	v_sub_f16_e32 v121, v51, v50
	v_fma_f16 v41, v123, s12, v41
	v_fma_f16 v40, v121, s1, v40
	;; [unrolled: 1-line block ×4, first 2 shown]
	v_mul_f16_e32 v42, 0x38b4, v41
	v_fma_f16 v126, v40, s14, v42
	v_mul_f16_e32 v40, 0xb8b4, v40
	v_fma_f16 v127, v41, s14, v40
	v_add_f16_e32 v40, v117, v108
	v_add_f16_e32 v40, v40, v49
	;; [unrolled: 1-line block ×6, first 2 shown]
	global_load_dwordx4 v[28:31], v[32:33], off offset:384
	v_add_f16_e32 v37, v37, v111
	v_add_f16_e32 v40, v40, v51
	;; [unrolled: 1-line block ×8, first 2 shown]
	v_pack_b32_f16 v1, v1, v2
	v_add_f16_e32 v2, v110, v112
	v_fma_f16 v2, v2, -0.5, v100
	v_sub_f16_e32 v3, v108, v56
	v_fma_f16 v40, v3, s0, v2
	v_sub_f16_e32 v0, v49, v113
	v_fma_f16 v5, v0, s1, v40
	global_load_dword v105, v[32:33], off offset:416
	global_load_dwordx4 v[40:43], v[32:33], off offset:400
	v_add_f16_e32 v6, v49, v113
	v_fma_f16 v6, v6, -0.5, v117
	v_sub_f16_e32 v7, v107, v98
	v_sub_f16_e32 v4, v110, v112
	v_fma_f16 v9, v7, s13, v6
	v_fma_f16 v9, v4, s12, v9
	;; [unrolled: 1-line block ×4, first 2 shown]
	v_add_f16_e32 v10, v5, v126
	v_add_f16_e32 v11, v9, v127
	v_pack_b32_f16 v10, v10, v11
	v_lshlrev_b32_e32 v89, 2, v36
	s_waitcnt vmcnt(0) lgkmcnt(0)
	s_barrier
	ds_write2_b32 v89, v1, v10 offset1:100
	v_lshrrev_b32_e32 v1, 16, v39
	v_fma_f16 v2, v3, s13, v2
	v_fma_f16 v2, v0, s12, v2
	;; [unrolled: 1-line block ×3, first 2 shown]
	v_sub_f16_e32 v103, v112, v98
	v_add_f16_e32 v98, v107, v98
	v_fma_f16 v98, v98, -0.5, v100
	v_fma_f16 v100, v0, s13, v98
	v_fma_f16 v0, v0, s0, v98
	;; [unrolled: 1-line block ×4, first 2 shown]
	v_sub_f16_e32 v49, v49, v108
	v_fma_f16 v6, v7, s0, v6
	v_fma_f16 v6, v4, s1, v6
	v_add_f16_e32 v100, v48, v55
	v_fma_f16 v100, v100, -0.5, v106
	v_sub_f16_e32 v48, v51, v48
	v_sub_f16_e32 v50, v50, v55
	v_add_f16_e32 v48, v48, v50
	v_fma_f16 v50, v123, s0, v100
	v_fma_f16 v51, v123, s13, v100
	;; [unrolled: 1-line block ×6, first 2 shown]
	v_mul_f16_e32 v51, 0x3b9c, v50
	v_fma_f16 v6, v116, s7, v6
	v_sub_f16_e32 v8, v52, v8
	v_sub_f16_e32 v37, v115, v37
	;; [unrolled: 1-line block ×4, first 2 shown]
	v_pack_b32_f16 v8, v37, v8
	v_pack_b32_f16 v5, v5, v9
	v_mul_f16_sdwa v11, v39, v28 dst_sel:DWORD dst_unused:UNUSED_PAD src0_sel:DWORD src1_sel:WORD_1
	v_mul_f16_sdwa v10, v1, v28 dst_sel:DWORD dst_unused:UNUSED_PAD src0_sel:DWORD src1_sel:WORD_1
	v_fma_f16 v1, v1, v28, v11
	v_lshrrev_b32_e32 v11, 16, v47
	v_mul_f16_sdwa v33, v47, v29 dst_sel:DWORD dst_unused:UNUSED_PAD src0_sel:DWORD src1_sel:WORD_1
	v_fma_f16 v10, v39, v28, -v10
	v_mul_f16_sdwa v32, v11, v29 dst_sel:DWORD dst_unused:UNUSED_PAD src0_sel:DWORD src1_sel:WORD_1
	v_fma_f16 v11, v11, v29, v33
	v_lshrrev_b32_e32 v33, 16, v46
	v_mul_f16_sdwa v39, v46, v30 dst_sel:DWORD dst_unused:UNUSED_PAD src0_sel:DWORD src1_sel:WORD_1
	v_mul_f16_sdwa v36, v33, v30 dst_sel:DWORD dst_unused:UNUSED_PAD src0_sel:DWORD src1_sel:WORD_1
	v_fma_f16 v33, v33, v30, v39
	v_lshrrev_b32_e32 v39, 16, v45
	v_fma_f16 v36, v46, v30, -v36
	v_mul_f16_sdwa v46, v39, v31 dst_sel:DWORD dst_unused:UNUSED_PAD src0_sel:DWORD src1_sel:WORD_1
	v_fma_f16 v46, v45, v31, -v46
	v_mul_f16_sdwa v45, v45, v31 dst_sel:DWORD dst_unused:UNUSED_PAD src0_sel:DWORD src1_sel:WORD_1
	v_fma_f16 v39, v39, v31, v45
	v_lshrrev_b32_e32 v45, 16, v44
	v_fma_f16 v32, v47, v29, -v32
	v_mul_f16_sdwa v47, v45, v40 dst_sel:DWORD dst_unused:UNUSED_PAD src0_sel:DWORD src1_sel:WORD_1
	v_fma_f16 v47, v44, v40, -v47
	v_mul_f16_sdwa v44, v44, v40 dst_sel:DWORD dst_unused:UNUSED_PAD src0_sel:DWORD src1_sel:WORD_1
	v_fma_f16 v44, v45, v40, v44
	v_lshrrev_b32_e32 v45, 16, v97
	v_mul_f16_sdwa v91, v45, v41 dst_sel:DWORD dst_unused:UNUSED_PAD src0_sel:DWORD src1_sel:WORD_1
	v_fma_f16 v91, v97, v41, -v91
	v_mul_f16_sdwa v97, v97, v41 dst_sel:DWORD dst_unused:UNUSED_PAD src0_sel:DWORD src1_sel:WORD_1
	v_fma_f16 v45, v45, v41, v97
	v_lshrrev_b32_e32 v97, 16, v96
	;; [unrolled: 5-line block ×4, first 2 shown]
	v_mul_f16_sdwa v94, v102, v105 dst_sel:DWORD dst_unused:UNUSED_PAD src0_sel:DWORD src1_sel:WORD_1
	v_fma_f16 v94, v101, v105, -v94
	v_mul_f16_sdwa v101, v101, v105 dst_sel:DWORD dst_unused:UNUSED_PAD src0_sel:DWORD src1_sel:WORD_1
	v_fma_f16 v101, v102, v105, v101
	v_sub_f16_e32 v102, v110, v107
	v_add_f16_e32 v102, v102, v103
	v_fma_f16 v3, v102, s7, v98
	v_add_f16_e32 v98, v108, v56
	v_fma_f16 v98, v98, -0.5, v117
	v_sub_f16_e32 v56, v113, v56
	v_add_f16_e32 v49, v49, v56
	v_fma_f16 v56, v4, s0, v98
	v_fma_f16 v4, v4, s13, v98
	;; [unrolled: 1-line block ×5, first 2 shown]
	v_sub_f16_e32 v56, v111, v109
	v_sub_f16_e32 v98, v114, v99
	v_add_f16_e32 v56, v56, v98
	v_add_f16_e32 v98, v109, v99
	v_fma_f16 v98, v98, -0.5, v104
	v_fma_f16 v99, v121, s13, v98
	v_fma_f16 v98, v121, s0, v98
	;; [unrolled: 1-line block ×8, first 2 shown]
	v_mul_f16_e32 v55, 0xbb9c, v99
	v_fma_f16 v49, v121, s12, v49
	v_fma_f16 v98, v122, s0, v125
	;; [unrolled: 1-line block ×3, first 2 shown]
	v_mul_f16_e32 v55, 0xb4f2, v56
	v_fma_f16 v49, v118, s7, v49
	v_fma_f16 v98, v123, s1, v98
	;; [unrolled: 1-line block ×3, first 2 shown]
	v_mul_f16_e32 v48, 0xb4f2, v48
	v_fma_f16 v98, v124, s7, v98
	v_fma_f16 v48, v56, s13, v48
	v_mul_f16_e32 v56, 0xba79, v49
	v_fma_f16 v56, v98, s1, v56
	v_mul_f16_e32 v98, 0xba79, v98
	v_fma_f16 v0, v102, s7, v0
	v_fma_f16 v51, v99, s7, v51
	;; [unrolled: 1-line block ×3, first 2 shown]
	v_add_f16_e32 v98, v3, v51
	v_sub_f16_e32 v3, v3, v51
	v_add_f16_e32 v51, v0, v55
	v_sub_f16_e32 v0, v0, v55
	;; [unrolled: 2-line block ×6, first 2 shown]
	v_sub_f16_e32 v49, v32, v46
	v_sub_f16_e32 v56, v93, v91
	v_add_f16_e32 v49, v49, v56
	v_add_f16_e32 v56, v46, v91
	v_fma_f16 v56, v56, -0.5, v38
	v_sub_f16_e32 v99, v11, v97
	v_fma_f16 v100, v99, s0, v56
	v_sub_f16_e32 v102, v39, v45
	v_fma_f16 v56, v99, s13, v56
	v_fma_f16 v100, v102, s1, v100
	;; [unrolled: 1-line block ×5, first 2 shown]
	v_sub_f16_e32 v56, v46, v32
	v_sub_f16_e32 v103, v91, v93
	v_add_f16_e32 v56, v56, v103
	v_add_f16_e32 v103, v32, v93
	v_fma_f16 v103, v103, -0.5, v38
	v_fma_f16 v104, v102, s13, v103
	v_fma_f16 v102, v102, s0, v103
	;; [unrolled: 1-line block ×6, first 2 shown]
	v_add_f16_e32 v99, v38, v32
	v_add_f16_e32 v99, v99, v46
	;; [unrolled: 1-line block ×4, first 2 shown]
	v_sub_f16_e32 v32, v32, v93
	v_sub_f16_e32 v46, v46, v91
	;; [unrolled: 1-line block ×4, first 2 shown]
	v_add_f16_e32 v91, v91, v93
	v_lshrrev_b32_e32 v38, 16, v38
	v_add_f16_e32 v93, v39, v45
	v_fma_f16 v93, v93, -0.5, v38
	v_fma_f16 v103, v32, s13, v93
	v_fma_f16 v93, v32, s0, v93
	;; [unrolled: 1-line block ×6, first 2 shown]
	v_add_f16_e32 v93, v11, v97
	v_fma_f16 v93, v93, -0.5, v38
	v_add_f16_e32 v38, v38, v11
	v_add_f16_e32 v38, v38, v39
	v_sub_f16_e32 v11, v39, v11
	v_sub_f16_e32 v39, v45, v97
	v_add_f16_e32 v38, v38, v45
	v_add_f16_e32 v11, v11, v39
	v_fma_f16 v39, v46, s0, v93
	v_fma_f16 v45, v46, s13, v93
	;; [unrolled: 1-line block ×6, first 2 shown]
	v_sub_f16_e32 v32, v36, v47
	v_sub_f16_e32 v45, v94, v92
	v_add_f16_e32 v32, v32, v45
	v_add_f16_e32 v45, v47, v92
	v_fma_f16 v45, v45, -0.5, v10
	v_sub_f16_e32 v46, v33, v101
	v_add_f16_e32 v38, v38, v97
	v_fma_f16 v93, v46, s0, v45
	v_sub_f16_e32 v97, v44, v96
	v_fma_f16 v45, v46, s13, v45
	v_fma_f16 v93, v97, s1, v93
	;; [unrolled: 1-line block ×5, first 2 shown]
	v_sub_f16_e32 v45, v47, v36
	v_sub_f16_e32 v104, v92, v94
	v_add_f16_e32 v45, v45, v104
	v_add_f16_e32 v104, v36, v94
	v_fma_f16 v104, v104, -0.5, v10
	v_fma_f16 v106, v97, s13, v104
	v_fma_f16 v97, v97, s0, v104
	v_add_f16_e32 v10, v10, v36
	v_fma_f16 v104, v46, s1, v106
	v_fma_f16 v46, v46, s12, v97
	v_add_f16_e32 v10, v10, v47
	;; [unrolled: 3-line block ×3, first 2 shown]
	v_sub_f16_e32 v46, v47, v92
	v_sub_f16_e32 v47, v33, v44
	;; [unrolled: 1-line block ×3, first 2 shown]
	v_add_f16_e32 v47, v47, v92
	v_add_f16_e32 v92, v44, v96
	v_sub_f16_e32 v36, v36, v94
	v_fma_f16 v92, v92, -0.5, v1
	v_add_f16_e32 v10, v10, v94
	v_fma_f16 v94, v36, s13, v92
	v_fma_f16 v92, v36, s0, v92
	;; [unrolled: 1-line block ×6, first 2 shown]
	v_add_f16_e32 v92, v33, v101
	v_fma_f16 v92, v92, -0.5, v1
	v_add_f16_e32 v1, v1, v33
	v_add_f16_e32 v1, v1, v44
	v_sub_f16_e32 v33, v44, v33
	v_sub_f16_e32 v44, v96, v101
	v_add_f16_e32 v33, v33, v44
	v_fma_f16 v44, v46, s0, v92
	v_fma_f16 v46, v46, s13, v92
	;; [unrolled: 1-line block ×6, first 2 shown]
	v_mul_f16_e32 v36, 0x38b4, v94
	v_fma_f16 v36, v93, s14, v36
	v_mul_f16_e32 v46, 0xb8b4, v93
	v_mul_f16_e32 v93, 0xbb9c, v97
	;; [unrolled: 1-line block ×3, first 2 shown]
	v_fma_f16 v44, v44, s7, v93
	v_mul_f16_e32 v93, 0xb4f2, v45
	v_fma_f16 v93, v33, s0, v93
	v_mul_f16_e32 v33, 0xb4f2, v33
	v_add_f16_e32 v1, v1, v96
	v_fma_f16 v33, v45, s13, v33
	v_mul_f16_e32 v45, 0xba79, v32
	v_add_f16_e32 v1, v1, v101
	v_fma_f16 v46, v94, s14, v46
	v_fma_f16 v92, v97, s7, v92
	;; [unrolled: 1-line block ×3, first 2 shown]
	v_mul_f16_e32 v47, 0xba79, v47
	v_add_f16_e32 v94, v100, v36
	v_sub_f16_e32 v36, v100, v36
	v_pack_b32_f16 v0, v0, v4
	v_pack_b32_f16 v2, v2, v6
	v_add_u32_e32 v100, 0xc00, v89
	v_fma_f16 v32, v32, s12, v47
	v_add_f16_e32 v47, v99, v10
	v_add_f16_e32 v101, v102, v92
	v_sub_f16_e32 v92, v102, v92
	v_add_f16_e32 v102, v56, v93
	v_sub_f16_e32 v56, v56, v93
	;; [unrolled: 2-line block ×4, first 2 shown]
	v_add_f16_e32 v38, v103, v46
	ds_write2_b32 v100, v0, v2 offset0:32 offset1:132
	v_mad_legacy_u16 v0, v34, s15, v35
	v_sub_f16_e32 v10, v99, v10
	v_sub_f16_e32 v46, v103, v46
	v_add_f16_e32 v103, v39, v44
	v_sub_f16_e32 v39, v39, v44
	v_add_f16_e32 v44, v11, v33
	v_pack_b32_f16 v52, v98, v52
	v_pack_b32_f16 v50, v51, v50
	v_add_u32_e32 v96, 0x200, v89
	v_pack_b32_f16 v48, v55, v48
	v_add_u32_e32 v97, 0x400, v89
	;; [unrolled: 2-line block ×3, first 2 shown]
	v_lshlrev_b32_e32 v99, 2, v0
	v_pack_b32_f16 v0, v47, v49
	v_pack_b32_f16 v2, v94, v38
	v_sub_f16_e32 v11, v11, v33
	v_add_f16_e32 v33, v91, v32
	ds_write2_b32 v96, v52, v50 offset0:72 offset1:172
	ds_write2_b32 v97, v48, v8 offset0:144 offset1:244
	;; [unrolled: 1-line block ×3, first 2 shown]
	ds_write2_b32 v99, v0, v2 offset1:100
	v_pack_b32_f16 v0, v101, v103
	v_pack_b32_f16 v2, v102, v44
	v_add_u32_e32 v101, 0x200, v99
	ds_write2_b32 v101, v0, v2 offset0:72 offset1:172
	v_pack_b32_f16 v0, v93, v33
	v_pack_b32_f16 v1, v10, v1
	v_add_u32_e32 v102, 0x400, v99
	v_sub_f16_e32 v32, v91, v32
	ds_write2_b32 v102, v0, v1 offset0:144 offset1:244
	v_pack_b32_f16 v0, v36, v46
	v_pack_b32_f16 v1, v92, v39
	v_add_u32_e32 v103, 0x800, v99
	ds_write2_b32 v103, v0, v1 offset0:88 offset1:188
	v_pack_b32_f16 v1, v45, v32
	v_mad_u64_u32 v[44:45], s[2:3], v86, 36, s[2:3]
	v_pack_b32_f16 v0, v56, v11
	v_add_u32_e32 v104, 0xc00, v99
	ds_write2_b32 v104, v0, v1 offset0:32 offset1:132
	s_waitcnt lgkmcnt(0)
	s_barrier
	global_load_dwordx4 v[32:35], v[44:45], off offset:3984
	global_load_dwordx4 v[36:39], v[44:45], off offset:4000
	ds_read_b32 v47, v73 offset:4000
	global_load_dword v106, v[44:45], off offset:4016
	ds_read_b32 v46, v73 offset:8000
	ds_read_b32 v48, v73 offset:6000
	;; [unrolled: 1-line block ×11, first 2 shown]
	s_waitcnt lgkmcnt(11)
	v_lshrrev_b32_e32 v0, 16, v47
	s_waitcnt lgkmcnt(10)
	v_lshrrev_b32_e32 v2, 16, v46
	ds_read_b32 v11, v73 offset:28000
	s_waitcnt lgkmcnt(8)
	v_lshrrev_b32_e32 v10, 16, v1
	s_waitcnt lgkmcnt(5)
	v_lshrrev_b32_e32 v52, 16, v5
	s_movk_i32 s2, 0x4650
	v_lshrrev_b32_e32 v55, 16, v3
	v_add_co_u32_e32 v49, vcc, s2, v44
	v_addc_co_u32_e32 v50, vcc, 0, v45, vcc
	ds_read_b32 v44, v73 offset:32000
	ds_read_b32 v91, v73 offset:30000
	;; [unrolled: 1-line block ×3, first 2 shown]
	s_waitcnt lgkmcnt(3)
	v_lshrrev_b32_e32 v45, 16, v11
	v_lshrrev_b32_e32 v51, 16, v7
	s_mov_b32 s2, 0xc000
	s_mov_b32 s3, 0xb4f2
	s_waitcnt vmcnt(2)
	v_mul_f16_sdwa v56, v0, v32 dst_sel:DWORD dst_unused:UNUSED_PAD src0_sel:DWORD src1_sel:WORD_1
	v_fma_f16 v93, v47, v32, -v56
	v_mul_f16_sdwa v47, v47, v32 dst_sel:DWORD dst_unused:UNUSED_PAD src0_sel:DWORD src1_sel:WORD_1
	v_fma_f16 v16, v0, v32, v47
	v_mul_f16_sdwa v47, v2, v33 dst_sel:DWORD dst_unused:UNUSED_PAD src0_sel:DWORD src1_sel:WORD_1
	v_fma_f16 v94, v46, v33, -v47
	v_mul_f16_sdwa v46, v46, v33 dst_sel:DWORD dst_unused:UNUSED_PAD src0_sel:DWORD src1_sel:WORD_1
	v_fma_f16 v2, v2, v33, v46
	v_mul_f16_sdwa v46, v10, v34 dst_sel:DWORD dst_unused:UNUSED_PAD src0_sel:DWORD src1_sel:WORD_1
	v_fma_f16 v117, v1, v34, -v46
	s_waitcnt vmcnt(1)
	v_mul_f16_sdwa v46, v52, v36 dst_sel:DWORD dst_unused:UNUSED_PAD src0_sel:DWORD src1_sel:WORD_1
	v_fma_f16 v118, v5, v36, -v46
	v_mul_f16_sdwa v5, v5, v36 dst_sel:DWORD dst_unused:UNUSED_PAD src0_sel:DWORD src1_sel:WORD_1
	v_mul_f16_sdwa v46, v55, v37 dst_sel:DWORD dst_unused:UNUSED_PAD src0_sel:DWORD src1_sel:WORD_1
	v_fma_f16 v5, v52, v36, v5
	v_fma_f16 v52, v3, v37, -v46
	v_mul_f16_sdwa v46, v45, v38 dst_sel:DWORD dst_unused:UNUSED_PAD src0_sel:DWORD src1_sel:WORD_1
	v_fma_f16 v119, v11, v38, -v46
	v_mul_f16_sdwa v11, v11, v38 dst_sel:DWORD dst_unused:UNUSED_PAD src0_sel:DWORD src1_sel:WORD_1
	v_mul_f16_sdwa v1, v1, v34 dst_sel:DWORD dst_unused:UNUSED_PAD src0_sel:DWORD src1_sel:WORD_1
	v_fma_f16 v11, v45, v38, v11
	s_waitcnt lgkmcnt(2)
	v_lshrrev_b32_e32 v45, 16, v44
	v_fma_f16 v12, v10, v34, v1
	v_mul_f16_sdwa v10, v51, v35 dst_sel:DWORD dst_unused:UNUSED_PAD src0_sel:DWORD src1_sel:WORD_1
	v_mul_f16_sdwa v46, v45, v39 dst_sel:DWORD dst_unused:UNUSED_PAD src0_sel:DWORD src1_sel:WORD_1
	v_fma_f16 v10, v7, v35, -v10
	v_mul_f16_sdwa v7, v7, v35 dst_sel:DWORD dst_unused:UNUSED_PAD src0_sel:DWORD src1_sel:WORD_1
	v_fma_f16 v120, v44, v39, -v46
	v_mul_f16_sdwa v44, v44, v39 dst_sel:DWORD dst_unused:UNUSED_PAD src0_sel:DWORD src1_sel:WORD_1
	v_fma_f16 v7, v51, v35, v7
	v_fma_f16 v121, v45, v39, v44
	ds_read_b32 v51, v73 offset:36000
	ds_read_b32 v114, v73 offset:38000
	ds_read_b32 v122, v73
	ds_read_b32 v116, v73 offset:34000
	global_load_dwordx4 v[44:47], v[49:50], off offset:3984
	v_mul_f16_sdwa v3, v3, v37 dst_sel:DWORD dst_unused:UNUSED_PAD src0_sel:DWORD src1_sel:WORD_1
	v_fma_f16 v3, v55, v37, v3
	s_waitcnt lgkmcnt(3)
	v_lshrrev_b32_e32 v55, 16, v51
	s_waitcnt vmcnt(1)
	v_mul_f16_sdwa v56, v55, v106 dst_sel:DWORD dst_unused:UNUSED_PAD src0_sel:DWORD src1_sel:WORD_1
	v_fma_f16 v123, v51, v106, -v56
	v_mul_f16_sdwa v51, v51, v106 dst_sel:DWORD dst_unused:UNUSED_PAD src0_sel:DWORD src1_sel:WORD_1
	v_fma_f16 v124, v55, v106, v51
	v_lshrrev_b32_e32 v51, 16, v48
	s_waitcnt lgkmcnt(2)
	v_lshrrev_b32_e32 v127, 16, v114
	v_sub_f16_e32 v95, v120, v52
	v_sub_f16_e32 v1, v2, v121
	;; [unrolled: 1-line block ×5, first 2 shown]
	v_add_f16_e32 v18, v18, v19
	s_waitcnt lgkmcnt(1)
	v_lshrrev_b32_e32 v19, 16, v122
	v_sub_f16_e32 v17, v94, v120
	s_waitcnt vmcnt(0)
	v_mul_f16_sdwa v55, v51, v44 dst_sel:DWORD dst_unused:UNUSED_PAD src0_sel:DWORD src1_sel:WORD_1
	v_fma_f16 v110, v48, v44, -v55
	v_mul_f16_sdwa v48, v48, v44 dst_sel:DWORD dst_unused:UNUSED_PAD src0_sel:DWORD src1_sel:WORD_1
	v_fma_f16 v55, v51, v44, v48
	v_lshrrev_b32_e32 v48, 16, v9
	v_mul_f16_sdwa v51, v48, v45 dst_sel:DWORD dst_unused:UNUSED_PAD src0_sel:DWORD src1_sel:WORD_1
	v_fma_f16 v125, v9, v45, -v51
	v_mul_f16_sdwa v9, v9, v45 dst_sel:DWORD dst_unused:UNUSED_PAD src0_sel:DWORD src1_sel:WORD_1
	v_fma_f16 v9, v48, v45, v9
	v_lshrrev_b32_e32 v48, 16, v8
	;; [unrolled: 5-line block ×3, first 2 shown]
	v_mul_f16_sdwa v48, v8, v47 dst_sel:DWORD dst_unused:UNUSED_PAD src0_sel:DWORD src1_sel:WORD_1
	v_fma_f16 v126, v6, v47, -v48
	global_load_dword v107, v[49:50], off offset:4016
	s_nop 0
	global_load_dwordx4 v[48:51], v[49:50], off offset:4000
	v_mul_f16_sdwa v6, v6, v47 dst_sel:DWORD dst_unused:UNUSED_PAD src0_sel:DWORD src1_sel:WORD_1
	v_fma_f16 v6, v8, v47, v6
	v_lshrrev_b32_e32 v8, 16, v4
	s_waitcnt vmcnt(0)
	v_mul_f16_sdwa v108, v8, v48 dst_sel:DWORD dst_unused:UNUSED_PAD src0_sel:DWORD src1_sel:WORD_1
	v_fma_f16 v113, v4, v48, -v108
	v_mul_f16_sdwa v4, v4, v48 dst_sel:DWORD dst_unused:UNUSED_PAD src0_sel:DWORD src1_sel:WORD_1
	v_fma_f16 v108, v8, v48, v4
	v_lshrrev_b32_e32 v4, 16, v92
	v_mul_f16_sdwa v8, v4, v49 dst_sel:DWORD dst_unused:UNUSED_PAD src0_sel:DWORD src1_sel:WORD_1
	v_fma_f16 v8, v92, v49, -v8
	v_mul_f16_sdwa v92, v92, v49 dst_sel:DWORD dst_unused:UNUSED_PAD src0_sel:DWORD src1_sel:WORD_1
	v_fma_f16 v4, v4, v49, v92
	v_lshrrev_b32_e32 v92, 16, v91
	v_mul_f16_sdwa v112, v92, v50 dst_sel:DWORD dst_unused:UNUSED_PAD src0_sel:DWORD src1_sel:WORD_1
	v_fma_f16 v115, v91, v50, -v112
	v_mul_f16_sdwa v91, v91, v50 dst_sel:DWORD dst_unused:UNUSED_PAD src0_sel:DWORD src1_sel:WORD_1
	v_fma_f16 v112, v92, v50, v91
	s_waitcnt lgkmcnt(0)
	v_lshrrev_b32_e32 v91, 16, v116
	v_mul_f16_sdwa v92, v91, v51 dst_sel:DWORD dst_unused:UNUSED_PAD src0_sel:DWORD src1_sel:WORD_1
	v_fma_f16 v92, v116, v51, -v92
	v_mul_f16_sdwa v116, v116, v51 dst_sel:DWORD dst_unused:UNUSED_PAD src0_sel:DWORD src1_sel:WORD_1
	v_fma_f16 v91, v91, v51, v116
	v_mul_f16_sdwa v116, v127, v107 dst_sel:DWORD dst_unused:UNUSED_PAD src0_sel:DWORD src1_sel:WORD_1
	v_fma_f16 v116, v114, v107, -v116
	v_mul_f16_sdwa v114, v114, v107 dst_sel:DWORD dst_unused:UNUSED_PAD src0_sel:DWORD src1_sel:WORD_1
	v_fma_f16 v114, v127, v107, v114
	v_sub_f16_e32 v127, v94, v10
	v_add_f16_e32 v95, v127, v95
	v_add_f16_e32 v127, v10, v52
	v_fma_f16 v127, v127, -0.5, v122
	v_fma_f16 v13, v1, s0, v127
	v_fma_f16 v15, v1, s13, v127
	;; [unrolled: 1-line block ×6, first 2 shown]
	v_sub_f16_e32 v95, v10, v94
	v_sub_f16_e32 v127, v52, v120
	v_add_f16_e32 v95, v95, v127
	v_add_f16_e32 v127, v94, v120
	v_fma_f16 v127, v127, -0.5, v122
	v_fma_f16 v0, v14, s13, v127
	v_fma_f16 v14, v14, s0, v127
	;; [unrolled: 1-line block ×4, first 2 shown]
	v_add_f16_e32 v14, v122, v94
	v_add_f16_e32 v14, v14, v10
	;; [unrolled: 1-line block ×3, first 2 shown]
	v_sub_f16_e32 v10, v10, v52
	v_add_f16_e32 v52, v7, v3
	v_fma_f16 v52, v52, -0.5, v19
	v_fma_f16 v94, v17, s13, v52
	v_fma_f16 v52, v17, s0, v52
	;; [unrolled: 1-line block ×6, first 2 shown]
	v_add_f16_e32 v52, v2, v121
	v_fma_f16 v52, v52, -0.5, v19
	v_add_f16_e32 v19, v19, v2
	v_add_f16_e32 v19, v19, v7
	v_sub_f16_e32 v2, v7, v2
	v_add_f16_e32 v7, v19, v3
	v_sub_f16_e32 v3, v3, v121
	v_add_f16_e32 v2, v2, v3
	v_fma_f16 v3, v10, s0, v52
	v_fma_f16 v10, v10, s13, v52
	;; [unrolled: 1-line block ×6, first 2 shown]
	v_sub_f16_e32 v10, v117, v118
	v_sub_f16_e32 v17, v123, v119
	v_add_f16_e32 v10, v10, v17
	v_add_f16_e32 v17, v118, v119
	v_fma_f16 v17, v17, -0.5, v93
	v_sub_f16_e32 v19, v12, v124
	v_fma_f16 v0, v95, s7, v0
	v_fma_f16 v1, v95, s7, v1
	;; [unrolled: 1-line block ×3, first 2 shown]
	v_sub_f16_e32 v95, v5, v11
	v_fma_f16 v17, v19, s13, v17
	v_fma_f16 v52, v95, s1, v52
	;; [unrolled: 1-line block ×3, first 2 shown]
	v_add_f16_e32 v14, v14, v120
	v_fma_f16 v52, v10, s7, v52
	v_fma_f16 v10, v10, s7, v17
	v_sub_f16_e32 v17, v118, v117
	v_sub_f16_e32 v120, v119, v123
	v_add_f16_e32 v17, v17, v120
	v_add_f16_e32 v120, v117, v123
	v_fma_f16 v120, v120, -0.5, v93
	v_add_f16_e32 v7, v7, v121
	v_fma_f16 v121, v95, s13, v120
	v_fma_f16 v95, v95, s0, v120
	;; [unrolled: 1-line block ×6, first 2 shown]
	v_add_f16_e32 v19, v93, v117
	v_add_f16_e32 v19, v19, v118
	v_add_f16_e32 v19, v19, v119
	v_sub_f16_e32 v93, v117, v123
	v_sub_f16_e32 v117, v118, v119
	;; [unrolled: 1-line block ×4, first 2 shown]
	v_add_f16_e32 v118, v118, v119
	v_add_f16_e32 v119, v5, v11
	v_fma_f16 v119, v119, -0.5, v16
	v_fma_f16 v120, v93, s13, v119
	v_fma_f16 v119, v93, s0, v119
	;; [unrolled: 1-line block ×6, first 2 shown]
	v_add_f16_e32 v119, v12, v124
	v_fma_f16 v119, v119, -0.5, v16
	v_add_f16_e32 v16, v16, v12
	v_add_f16_e32 v16, v16, v5
	v_sub_f16_e32 v5, v5, v12
	v_add_f16_e32 v12, v16, v11
	v_sub_f16_e32 v11, v11, v124
	v_add_f16_e32 v5, v5, v11
	v_fma_f16 v11, v117, s0, v119
	v_fma_f16 v11, v93, s12, v11
	;; [unrolled: 1-line block ×5, first 2 shown]
	v_mul_f16_e32 v93, 0x3b9c, v11
	v_fma_f16 v93, v95, s7, v93
	v_mul_f16_e32 v95, 0xbb9c, v95
	v_fma_f16 v5, v5, s7, v16
	v_fma_f16 v11, v11, s7, v95
	v_mul_f16_e32 v95, 0xb4f2, v17
	v_mul_f16_e32 v16, 0x38b4, v120
	v_fma_f16 v95, v5, s0, v95
	v_mul_f16_e32 v5, 0xb4f2, v5
	v_fma_f16 v16, v52, s14, v16
	;; [unrolled: 2-line block ×3, first 2 shown]
	v_mul_f16_e32 v17, 0xba79, v10
	v_mul_f16_e32 v117, 0xba79, v118
	v_add_f16_e32 v19, v19, v123
	v_add_f16_e32 v12, v12, v124
	v_fma_f16 v52, v120, s14, v52
	v_fma_f16 v17, v118, s1, v17
	v_fma_f16 v10, v10, s12, v117
	v_add_f16_e32 v117, v14, v19
	v_sub_f16_e32 v14, v14, v19
	v_add_f16_e32 v19, v13, v16
	v_sub_f16_e32 v13, v13, v16
	;; [unrolled: 2-line block ×10, first 2 shown]
	v_sub_f16_e32 v18, v125, v126
	v_sub_f16_e32 v118, v92, v8
	v_add_f16_e32 v18, v18, v118
	v_add_f16_e32 v118, v126, v8
	v_fma_f16 v118, v118, -0.5, v109
	v_sub_f16_e32 v119, v9, v91
	v_fma_f16 v120, v119, s0, v118
	v_sub_f16_e32 v121, v6, v4
	v_fma_f16 v118, v119, s13, v118
	v_fma_f16 v120, v121, s1, v120
	v_fma_f16 v118, v121, s12, v118
	v_fma_f16 v120, v18, s7, v120
	v_fma_f16 v18, v18, s7, v118
	v_sub_f16_e32 v118, v126, v125
	v_sub_f16_e32 v122, v8, v92
	v_add_f16_e32 v118, v118, v122
	v_add_f16_e32 v122, v125, v92
	v_fma_f16 v122, v122, -0.5, v109
	v_fma_f16 v123, v121, s13, v122
	v_fma_f16 v121, v121, s0, v122
	v_fma_f16 v122, v119, s1, v123
	v_fma_f16 v119, v119, s12, v121
	v_fma_f16 v121, v118, s7, v122
	v_fma_f16 v118, v118, s7, v119
	v_add_f16_e32 v119, v109, v125
	v_add_f16_e32 v119, v119, v126
	v_sub_f16_e32 v122, v9, v6
	v_sub_f16_e32 v123, v91, v4
	v_add_f16_e32 v119, v119, v8
	v_add_f16_e32 v122, v122, v123
	v_lshrrev_b32_e32 v109, 16, v109
	v_add_f16_e32 v123, v6, v4
	v_add_f16_e32 v119, v119, v92
	v_sub_f16_e32 v92, v125, v92
	v_fma_f16 v123, v123, -0.5, v109
	v_sub_f16_e32 v8, v126, v8
	v_fma_f16 v124, v92, s13, v123
	v_fma_f16 v123, v92, s0, v123
	;; [unrolled: 1-line block ×6, first 2 shown]
	v_add_f16_e32 v123, v9, v91
	v_fma_f16 v123, v123, -0.5, v109
	v_add_f16_e32 v109, v109, v9
	v_add_f16_e32 v109, v109, v6
	v_sub_f16_e32 v6, v6, v9
	v_add_f16_e32 v9, v109, v4
	v_sub_f16_e32 v4, v4, v91
	v_add_f16_e32 v4, v6, v4
	v_fma_f16 v6, v8, s0, v123
	v_fma_f16 v8, v8, s13, v123
	;; [unrolled: 1-line block ×4, first 2 shown]
	v_add_f16_e32 v9, v9, v91
	v_fma_f16 v6, v4, s7, v6
	v_fma_f16 v4, v4, s7, v8
	v_sub_f16_e32 v8, v111, v113
	v_sub_f16_e32 v91, v116, v115
	v_add_f16_e32 v8, v8, v91
	v_add_f16_e32 v91, v113, v115
	v_fma_f16 v91, v91, -0.5, v110
	v_sub_f16_e32 v92, v56, v114
	v_fma_f16 v109, v92, s0, v91
	v_sub_f16_e32 v123, v108, v112
	v_fma_f16 v91, v92, s13, v91
	v_fma_f16 v109, v123, s1, v109
	;; [unrolled: 1-line block ×5, first 2 shown]
	v_sub_f16_e32 v91, v113, v111
	v_sub_f16_e32 v125, v115, v116
	v_add_f16_e32 v91, v91, v125
	v_add_f16_e32 v125, v111, v116
	v_fma_f16 v125, v125, -0.5, v110
	v_fma_f16 v126, v123, s13, v125
	v_fma_f16 v123, v123, s0, v125
	;; [unrolled: 1-line block ×6, first 2 shown]
	v_add_f16_e32 v92, v110, v111
	v_add_f16_e32 v92, v92, v113
	;; [unrolled: 1-line block ×3, first 2 shown]
	v_sub_f16_e32 v110, v111, v116
	v_sub_f16_e32 v111, v113, v115
	v_sub_f16_e32 v113, v56, v108
	v_sub_f16_e32 v115, v114, v112
	v_add_f16_e32 v113, v113, v115
	v_add_f16_e32 v115, v108, v112
	v_fma_f16 v115, v115, -0.5, v55
	v_add_f16_e32 v92, v92, v116
	v_fma_f16 v116, v110, s13, v115
	v_fma_f16 v115, v110, s0, v115
	;; [unrolled: 1-line block ×6, first 2 shown]
	v_add_f16_e32 v115, v56, v114
	v_fma_f16 v115, v115, -0.5, v55
	v_add_f16_e32 v55, v55, v56
	v_add_f16_e32 v55, v55, v108
	v_sub_f16_e32 v56, v108, v56
	v_sub_f16_e32 v108, v112, v114
	v_add_f16_e32 v56, v56, v108
	v_fma_f16 v108, v111, s0, v115
	v_fma_f16 v111, v111, s13, v115
	;; [unrolled: 1-line block ×3, first 2 shown]
	v_add_f16_e32 v55, v55, v112
	v_fma_f16 v110, v110, s1, v111
	v_fma_f16 v108, v56, s7, v108
	v_mul_f16_e32 v112, 0xbb9c, v123
	v_fma_f16 v56, v56, s7, v110
	v_mul_f16_e32 v111, 0x3b9c, v108
	;; [unrolled: 2-line block ×4, first 2 shown]
	v_mul_f16_e32 v110, 0x38b4, v116
	v_fma_f16 v56, v91, s13, v56
	v_mul_f16_e32 v91, 0xba79, v8
	v_pack_b32_f16 v0, v0, v3
	v_add_f16_e32 v55, v55, v114
	v_fma_f16 v110, v109, s14, v110
	v_mul_f16_e32 v109, 0xb8b4, v109
	v_fma_f16 v91, v113, s1, v91
	v_mul_f16_e32 v113, 0xba79, v113
	ds_write_b32 v73, v0 offset:28000
	v_pack_b32_f16 v0, v1, v2
	v_fma_f16 v109, v116, s14, v109
	v_fma_f16 v8, v8, s12, v113
	v_add_f16_e32 v113, v119, v92
	v_add_f16_e32 v116, v118, v112
	v_sub_f16_e32 v112, v118, v112
	v_add_f16_e32 v118, v18, v91
	v_sub_f16_e32 v18, v18, v91
	v_add_f16_e32 v91, v9, v55
	ds_write_b32 v73, v0 offset:32000
	v_pack_b32_f16 v0, v15, v10
	v_fma_f16 v111, v123, s7, v111
	v_add_f16_e32 v114, v120, v110
	v_sub_f16_e32 v9, v9, v55
	v_add_f16_e32 v55, v124, v109
	ds_write_b32 v73, v0 offset:36000
	v_pack_b32_f16 v0, v113, v91
	v_sub_f16_e32 v92, v119, v92
	v_add_f16_e32 v115, v121, v111
	v_add_f16_e32 v119, v6, v108
	ds_write_b32 v73, v0 offset:2000
	v_pack_b32_f16 v0, v114, v55
	v_sub_f16_e32 v6, v6, v108
	v_add_f16_e32 v108, v4, v56
	ds_write_b32 v73, v0 offset:6000
	v_pack_b32_f16 v0, v115, v119
	v_sub_f16_e32 v4, v4, v56
	v_add_f16_e32 v56, v122, v8
	ds_write_b32 v73, v0 offset:10000
	v_pack_b32_f16 v0, v116, v108
	ds_write_b32 v73, v0 offset:14000
	v_pack_b32_f16 v0, v118, v56
	v_sub_f16_e32 v110, v120, v110
	v_sub_f16_e32 v109, v124, v109
	ds_write_b32 v73, v0 offset:18000
	v_pack_b32_f16 v0, v92, v9
	v_sub_f16_e32 v111, v121, v111
	ds_write_b32 v73, v0 offset:22000
	v_pack_b32_f16 v0, v110, v109
	v_pack_b32_f16 v5, v95, v5
	ds_write_b32 v73, v0 offset:26000
	v_pack_b32_f16 v0, v111, v6
	v_sub_f16_e32 v8, v122, v8
	v_pack_b32_f16 v12, v19, v12
	ds_write_b32 v73, v5 offset:16000
	v_pack_b32_f16 v5, v14, v7
	ds_write_b32 v73, v0 offset:30000
	v_pack_b32_f16 v0, v112, v4
	v_pack_b32_f16 v17, v117, v17
	ds_write_b32 v73, v12 offset:4000
	v_pack_b32_f16 v12, v16, v94
	;; [unrolled: 3-line block ×3, first 2 shown]
	ds_write_b32 v73, v0 offset:34000
	v_pack_b32_f16 v0, v18, v8
	ds_write_b32 v73, v17
	ds_write_b32 v73, v12 offset:8000
	ds_write_b32 v73, v11 offset:12000
	;; [unrolled: 1-line block ×4, first 2 shown]
	s_waitcnt lgkmcnt(0)
	s_barrier
	global_load_dword v108, v[53:54], off offset:3136
	v_add_co_u32_e32 v53, vcc, s2, v87
	v_addc_co_u32_e32 v54, vcc, 0, v88, vcc
	global_load_dword v109, v[53:54], off offset:848
	s_mov_b32 s2, 0xe000
	v_add_co_u32_e32 v55, vcc, s2, v87
	v_addc_co_u32_e32 v56, vcc, 0, v88, vcc
	s_mov_b32 s2, 0x11000
	v_add_co_u32_e32 v110, vcc, s2, v87
	ds_read_b32 v0, v73
	ds_read_b32 v1, v73 offset:2000
	ds_read_b32 v2, v73 offset:4000
	;; [unrolled: 1-line block ×5, first 2 shown]
	s_waitcnt lgkmcnt(5)
	v_lshrrev_b32_e32 v6, 16, v0
	v_addc_co_u32_e32 v111, vcc, 0, v88, vcc
	s_mov_b32 s2, 0x9c40
	v_add_co_u32_e32 v112, vcc, s2, v87
	v_addc_co_u32_e32 v113, vcc, 0, v88, vcc
	global_load_dword v7, v[110:111], off offset:368
	global_load_dword v8, v[112:113], off offset:2000
	;; [unrolled: 1-line block ×5, first 2 shown]
	s_mov_b32 s2, 0xf000
	s_waitcnt lgkmcnt(2)
	v_lshrrev_b32_e32 v115, 16, v3
	s_waitcnt vmcnt(6)
	v_mul_f16_sdwa v12, v6, v108 dst_sel:DWORD dst_unused:UNUSED_PAD src0_sel:DWORD src1_sel:WORD_1
	v_fma_f16 v12, v0, v108, -v12
	v_mul_f16_sdwa v0, v0, v108 dst_sel:DWORD dst_unused:UNUSED_PAD src0_sel:DWORD src1_sel:WORD_1
	v_fma_f16 v0, v6, v108, v0
	ds_read_b32 v6, v73 offset:22000
	ds_read_b32 v13, v73 offset:24000
	;; [unrolled: 1-line block ×7, first 2 shown]
	s_waitcnt lgkmcnt(4)
	v_lshrrev_b32_e32 v19, 16, v14
	s_waitcnt vmcnt(5)
	v_mul_f16_sdwa v52, v19, v109 dst_sel:DWORD dst_unused:UNUSED_PAD src0_sel:DWORD src1_sel:WORD_1
	v_fma_f16 v52, v14, v109, -v52
	v_mul_f16_sdwa v14, v14, v109 dst_sel:DWORD dst_unused:UNUSED_PAD src0_sel:DWORD src1_sel:WORD_1
	v_fma_f16 v14, v19, v109, v14
	global_load_dword v19, v[55:56], off offset:2656
	ds_read_b32 v53, v73 offset:20000
	v_pack_b32_f16 v0, v12, v0
	s_waitcnt lgkmcnt(0)
	v_lshrrev_b32_e32 v54, 16, v53
	s_waitcnt vmcnt(0)
	v_mul_f16_sdwa v55, v54, v19 dst_sel:DWORD dst_unused:UNUSED_PAD src0_sel:DWORD src1_sel:WORD_1
	v_fma_f16 v91, v53, v19, -v55
	v_mul_f16_sdwa v53, v53, v19 dst_sel:DWORD dst_unused:UNUSED_PAD src0_sel:DWORD src1_sel:WORD_1
	v_fma_f16 v19, v54, v19, v53
	ds_read_b32 v53, v73 offset:30000
	ds_read_b32 v92, v73 offset:32000
	;; [unrolled: 1-line block ×3, first 2 shown]
	s_waitcnt lgkmcnt(2)
	v_lshrrev_b32_e32 v54, 16, v53
	v_mul_f16_sdwa v55, v54, v7 dst_sel:DWORD dst_unused:UNUSED_PAD src0_sel:DWORD src1_sel:WORD_1
	v_fma_f16 v94, v53, v7, -v55
	v_mul_f16_sdwa v53, v53, v7 dst_sel:DWORD dst_unused:UNUSED_PAD src0_sel:DWORD src1_sel:WORD_1
	v_fma_f16 v7, v54, v7, v53
	v_lshrrev_b32_e32 v53, 16, v1
	v_mul_f16_sdwa v54, v53, v8 dst_sel:DWORD dst_unused:UNUSED_PAD src0_sel:DWORD src1_sel:WORD_1
	v_fma_f16 v95, v1, v8, -v54
	v_mul_f16_sdwa v1, v1, v8 dst_sel:DWORD dst_unused:UNUSED_PAD src0_sel:DWORD src1_sel:WORD_1
	v_fma_f16 v1, v53, v8, v1
	v_lshrrev_b32_e32 v8, 16, v15
	v_mul_f16_sdwa v53, v8, v9 dst_sel:DWORD dst_unused:UNUSED_PAD src0_sel:DWORD src1_sel:WORD_1
	v_fma_f16 v112, v15, v9, -v53
	v_add_co_u32_e32 v53, vcc, s2, v87
	v_addc_co_u32_e32 v54, vcc, 0, v88, vcc
	s_mov_b32 s2, 0xd000
	v_add_co_u32_e32 v55, vcc, s2, v87
	v_addc_co_u32_e32 v56, vcc, 0, v88, vcc
	s_mov_b32 s2, 0x12000
	v_mul_f16_sdwa v15, v15, v9 dst_sel:DWORD dst_unused:UNUSED_PAD src0_sel:DWORD src1_sel:WORD_1
	v_add_co_u32_e32 v108, vcc, s2, v87
	v_fma_f16 v8, v8, v9, v15
	v_addc_co_u32_e32 v109, vcc, 0, v88, vcc
	global_load_dword v9, v[53:54], off offset:560
	global_load_dword v15, v[108:109], off offset:2272
	;; [unrolled: 1-line block ×3, first 2 shown]
	s_nop 0
	global_load_dword v53, v[53:54], off offset:2560
	s_nop 0
	global_load_dword v54, v[110:111], off offset:2368
	v_lshrrev_b32_e32 v110, 16, v6
	s_mov_b32 s2, 0xb000
	s_waitcnt vmcnt(4)
	v_mul_f16_sdwa v111, v110, v9 dst_sel:DWORD dst_unused:UNUSED_PAD src0_sel:DWORD src1_sel:WORD_1
	v_fma_f16 v111, v6, v9, -v111
	v_mul_f16_sdwa v6, v6, v9 dst_sel:DWORD dst_unused:UNUSED_PAD src0_sel:DWORD src1_sel:WORD_1
	v_fma_f16 v6, v110, v9, v6
	s_waitcnt lgkmcnt(1)
	v_lshrrev_b32_e32 v9, 16, v92
	s_waitcnt vmcnt(0)
	v_mul_f16_sdwa v110, v9, v54 dst_sel:DWORD dst_unused:UNUSED_PAD src0_sel:DWORD src1_sel:WORD_1
	v_fma_f16 v110, v92, v54, -v110
	v_mul_f16_sdwa v92, v92, v54 dst_sel:DWORD dst_unused:UNUSED_PAD src0_sel:DWORD src1_sel:WORD_1
	v_fma_f16 v9, v9, v54, v92
	v_lshrrev_b32_e32 v54, 16, v2
	v_mul_f16_sdwa v92, v54, v11 dst_sel:DWORD dst_unused:UNUSED_PAD src0_sel:DWORD src1_sel:WORD_1
	v_fma_f16 v92, v2, v11, -v92
	v_mul_f16_sdwa v2, v2, v11 dst_sel:DWORD dst_unused:UNUSED_PAD src0_sel:DWORD src1_sel:WORD_1
	v_fma_f16 v2, v54, v11, v2
	global_load_dword v11, v[55:56], off offset:752
	v_lshrrev_b32_e32 v54, 16, v16
	s_waitcnt vmcnt(0)
	v_mul_f16_sdwa v55, v54, v11 dst_sel:DWORD dst_unused:UNUSED_PAD src0_sel:DWORD src1_sel:WORD_1
	v_fma_f16 v55, v16, v11, -v55
	v_mul_f16_sdwa v16, v16, v11 dst_sel:DWORD dst_unused:UNUSED_PAD src0_sel:DWORD src1_sel:WORD_1
	v_fma_f16 v11, v54, v11, v16
	v_lshrrev_b32_e32 v16, 16, v13
	v_mul_f16_sdwa v54, v16, v53 dst_sel:DWORD dst_unused:UNUSED_PAD src0_sel:DWORD src1_sel:WORD_1
	v_fma_f16 v56, v13, v53, -v54
	v_mul_f16_sdwa v13, v13, v53 dst_sel:DWORD dst_unused:UNUSED_PAD src0_sel:DWORD src1_sel:WORD_1
	v_fma_f16 v13, v16, v53, v13
	global_load_dword v16, v[108:109], off offset:272
	ds_read_b32 v53, v73 offset:34000
	ds_read_b32 v108, v73 offset:36000
	s_waitcnt lgkmcnt(1)
	v_lshrrev_b32_e32 v54, 16, v53
	s_waitcnt vmcnt(0)
	v_mul_f16_sdwa v109, v54, v16 dst_sel:DWORD dst_unused:UNUSED_PAD src0_sel:DWORD src1_sel:WORD_1
	v_fma_f16 v109, v53, v16, -v109
	v_mul_f16_sdwa v53, v53, v16 dst_sel:DWORD dst_unused:UNUSED_PAD src0_sel:DWORD src1_sel:WORD_1
	v_fma_f16 v16, v54, v16, v53
	v_add_co_u32_e32 v53, vcc, s2, v87
	v_addc_co_u32_e32 v54, vcc, 0, v88, vcc
	global_load_dword v114, v[53:54], off offset:944
	s_mov_b32 s2, 0x10000
	s_waitcnt vmcnt(0)
	v_mul_f16_sdwa v116, v115, v114 dst_sel:DWORD dst_unused:UNUSED_PAD src0_sel:DWORD src1_sel:WORD_1
	v_fma_f16 v116, v3, v114, -v116
	v_mul_f16_sdwa v3, v3, v114 dst_sel:DWORD dst_unused:UNUSED_PAD src0_sel:DWORD src1_sel:WORD_1
	v_fma_f16 v3, v115, v114, v3
	v_lshrrev_b32_e32 v114, 16, v17
	v_mul_f16_sdwa v115, v114, v113 dst_sel:DWORD dst_unused:UNUSED_PAD src0_sel:DWORD src1_sel:WORD_1
	v_fma_f16 v115, v17, v113, -v115
	v_mul_f16_sdwa v17, v17, v113 dst_sel:DWORD dst_unused:UNUSED_PAD src0_sel:DWORD src1_sel:WORD_1
	v_fma_f16 v17, v114, v113, v17
	global_load_dword v113, v[53:54], off offset:2944
	v_add_co_u32_e32 v53, vcc, s2, v87
	v_addc_co_u32_e32 v54, vcc, 0, v88, vcc
	global_load_dword v114, v[53:54], off offset:464
	global_load_dword v117, v[53:54], off offset:2464
	s_mov_b32 s2, 0x13000
	v_add_co_u32_e32 v53, vcc, s2, v87
	v_addc_co_u32_e32 v54, vcc, 0, v88, vcc
	global_load_dword v53, v[53:54], off offset:176
	ds_write_b32 v73, v0
	v_pack_b32_f16 v0, v52, v14
	ds_write_b32 v73, v0 offset:10000
	v_pack_b32_f16 v0, v91, v19
	ds_write_b32 v73, v0 offset:20000
	;; [unrolled: 2-line block ×11, first 2 shown]
	ds_read_b32 v0, v73 offset:26000
	v_pack_b32_f16 v1, v116, v3
	ds_write_b32 v73, v1 offset:6000
	v_pack_b32_f16 v1, v115, v17
	ds_write_b32 v73, v1 offset:16000
	s_waitcnt lgkmcnt(2)
	v_lshrrev_b32_e32 v1, 16, v0
	s_mov_b32 s2, 0xba79
	s_waitcnt vmcnt(2)
	v_mul_f16_sdwa v2, v1, v114 dst_sel:DWORD dst_unused:UNUSED_PAD src0_sel:DWORD src1_sel:WORD_1
	v_fma_f16 v2, v0, v114, -v2
	v_mul_f16_sdwa v0, v0, v114 dst_sel:DWORD dst_unused:UNUSED_PAD src0_sel:DWORD src1_sel:WORD_1
	v_fma_f16 v0, v1, v114, v0
	v_pack_b32_f16 v0, v2, v0
	ds_write_b32 v73, v0 offset:26000
	v_lshrrev_b32_e32 v0, 16, v108
	v_mul_f16_sdwa v1, v0, v15 dst_sel:DWORD dst_unused:UNUSED_PAD src0_sel:DWORD src1_sel:WORD_1
	v_mul_f16_sdwa v2, v108, v15 dst_sel:DWORD dst_unused:UNUSED_PAD src0_sel:DWORD src1_sel:WORD_1
	v_fma_f16 v1, v108, v15, -v1
	v_fma_f16 v0, v0, v15, v2
	v_pack_b32_f16 v0, v1, v0
	ds_write_b32 v73, v0 offset:36000
	v_lshrrev_b32_e32 v0, 16, v4
	v_mul_f16_sdwa v1, v0, v113 dst_sel:DWORD dst_unused:UNUSED_PAD src0_sel:DWORD src1_sel:WORD_1
	v_mul_f16_sdwa v2, v4, v113 dst_sel:DWORD dst_unused:UNUSED_PAD src0_sel:DWORD src1_sel:WORD_1
	v_fma_f16 v1, v4, v113, -v1
	;; [unrolled: 7-line block ×3, first 2 shown]
	v_fma_f16 v0, v0, v10, v2
	v_pack_b32_f16 v0, v1, v0
	ds_write_b32 v73, v0 offset:18000
	v_lshrrev_b32_e32 v0, 16, v93
	s_waitcnt vmcnt(1)
	v_mul_f16_sdwa v1, v0, v117 dst_sel:DWORD dst_unused:UNUSED_PAD src0_sel:DWORD src1_sel:WORD_1
	v_mul_f16_sdwa v2, v93, v117 dst_sel:DWORD dst_unused:UNUSED_PAD src0_sel:DWORD src1_sel:WORD_1
	v_fma_f16 v1, v93, v117, -v1
	v_fma_f16 v0, v0, v117, v2
	v_pack_b32_f16 v0, v1, v0
	ds_write_b32 v73, v0 offset:28000
	v_lshrrev_b32_e32 v0, 16, v5
	s_waitcnt vmcnt(0)
	v_mul_f16_sdwa v1, v0, v53 dst_sel:DWORD dst_unused:UNUSED_PAD src0_sel:DWORD src1_sel:WORD_1
	v_mul_f16_sdwa v2, v5, v53 dst_sel:DWORD dst_unused:UNUSED_PAD src0_sel:DWORD src1_sel:WORD_1
	v_fma_f16 v1, v5, v53, -v1
	v_fma_f16 v0, v0, v53, v2
	v_pack_b32_f16 v0, v1, v0
	ds_write_b32 v73, v0 offset:38000
	s_waitcnt lgkmcnt(0)
	s_barrier
	ds_read_b32 v0, v73
	ds_read_b32 v1, v73 offset:10000
	ds_read_b32 v2, v73 offset:30000
	;; [unrolled: 1-line block ×11, first 2 shown]
	s_waitcnt lgkmcnt(4)
	v_pk_add_f16 v7, v0, v7 neg_lo:[0,1] neg_hi:[0,1]
	v_pk_add_f16 v2, v1, v2 neg_lo:[0,1] neg_hi:[0,1]
	v_lshrrev_b32_e32 v16, 16, v7
	v_add_f16_sdwa v15, v7, v2 dst_sel:DWORD dst_unused:UNUSED_PAD src0_sel:DWORD src1_sel:WORD_1
	v_sub_f16_e32 v17, v16, v2
	v_pk_fma_f16 v0, v0, 2.0, v7 op_sel_hi:[1,0,1] neg_lo:[0,0,1] neg_hi:[0,0,1]
	v_pk_fma_f16 v1, v1, 2.0, v2 op_sel_hi:[1,0,1] neg_lo:[0,0,1] neg_hi:[0,0,1]
	v_fma_f16 v18, v7, 2.0, -v15
	v_fma_f16 v16, v16, 2.0, -v17
	v_pk_add_f16 v55, v0, v1 neg_lo:[0,1] neg_hi:[0,1]
	ds_read_b32 v12, v73 offset:12000
	ds_read_b32 v13, v73 offset:32000
	;; [unrolled: 1-line block ×3, first 2 shown]
	v_pack_b32_f16 v56, v15, v17
	v_pack_b32_f16 v54, v18, v16
	ds_read_b32 v15, v73 offset:14000
	ds_read_b32 v16, v73 offset:24000
	;; [unrolled: 1-line block ×5, first 2 shown]
	v_pk_fma_f16 v53, v0, 2.0, v55 op_sel_hi:[1,0,1] neg_lo:[0,0,1] neg_hi:[0,0,1]
	s_waitcnt lgkmcnt(0)
	s_barrier
	buffer_load_dword v0, off, s[20:23], 0 offset:100 ; 4-byte Folded Reload
	v_pk_add_f16 v1, v15, v1 neg_lo:[0,1] neg_hi:[0,1]
	v_pk_add_f16 v2, v5, v2 neg_lo:[0,1] neg_hi:[0,1]
	v_pk_fma_f16 v5, v5, 2.0, v2 op_sel_hi:[1,0,1] neg_lo:[0,0,1] neg_hi:[0,0,1]
	s_waitcnt vmcnt(0)
	ds_write_b128 v0, v[53:56]
	v_pk_add_f16 v0, v10, v6 neg_lo:[0,1] neg_hi:[0,1]
	v_pk_add_f16 v6, v12, v13 neg_lo:[0,1] neg_hi:[0,1]
	v_lshrrev_b32_e32 v13, 16, v0
	v_add_f16_sdwa v18, v0, v6 dst_sel:DWORD dst_unused:UNUSED_PAD src0_sel:DWORD src1_sel:WORD_1
	v_sub_f16_e32 v17, v13, v6
	v_fma_f16 v19, v0, 2.0, -v18
	v_pk_fma_f16 v0, v10, 2.0, v0 op_sel_hi:[1,0,1] neg_lo:[0,0,1] neg_hi:[0,0,1]
	v_pk_fma_f16 v6, v12, 2.0, v6 op_sel_hi:[1,0,1] neg_lo:[0,0,1] neg_hi:[0,0,1]
	v_pk_add_f16 v55, v0, v6 neg_lo:[0,1] neg_hi:[0,1]
	v_pk_fma_f16 v53, v0, 2.0, v55 op_sel_hi:[1,0,1] neg_lo:[0,0,1] neg_hi:[0,0,1]
	buffer_load_dword v0, off, s[20:23], 0 offset:96 ; 4-byte Folded Reload
	v_fma_f16 v13, v13, 2.0, -v17
	v_pack_b32_f16 v56, v18, v17
	v_pack_b32_f16 v54, v19, v13
	s_waitcnt vmcnt(0)
	ds_write_b128 v0, v[53:56]
	v_pk_add_f16 v0, v9, v16 neg_lo:[0,1] neg_hi:[0,1]
	v_pk_fma_f16 v6, v9, 2.0, v0 op_sel_hi:[1,0,1] neg_lo:[0,0,1] neg_hi:[0,0,1]
	v_pk_fma_f16 v9, v15, 2.0, v1 op_sel_hi:[1,0,1] neg_lo:[0,0,1] neg_hi:[0,0,1]
	v_pk_add_f16 v55, v6, v9 neg_lo:[0,1] neg_hi:[0,1]
	v_pk_fma_f16 v53, v6, 2.0, v55 op_sel_hi:[1,0,1] neg_lo:[0,0,1] neg_hi:[0,0,1]
	v_pk_add_f16 v6, v3, v7 neg_lo:[0,1] neg_hi:[0,1]
	;; [unrolled: 2-line block ×3, first 2 shown]
	v_lshrrev_b32_e32 v5, 16, v0
	v_pk_fma_f16 v108, v3, 2.0, v110 op_sel_hi:[1,0,1] neg_lo:[0,0,1] neg_hi:[0,0,1]
	v_add_f16_sdwa v3, v0, v1 dst_sel:DWORD dst_unused:UNUSED_PAD src0_sel:DWORD src1_sel:WORD_1
	v_sub_f16_e32 v1, v5, v1
	v_fma_f16 v0, v0, 2.0, -v3
	v_pack_b32_f16 v56, v3, v1
	v_fma_f16 v1, v5, 2.0, -v1
	v_pack_b32_f16 v54, v0, v1
	v_add_f16_sdwa v0, v6, v2 dst_sel:DWORD dst_unused:UNUSED_PAD src0_sel:DWORD src1_sel:WORD_1
	v_lshrrev_b32_e32 v1, 16, v6
	v_fma_f16 v3, v6, 2.0, -v0
	v_pk_add_f16 v6, v8, v11 neg_lo:[0,1] neg_hi:[0,1]
	v_pk_fma_f16 v7, v8, 2.0, v6 op_sel_hi:[1,0,1] neg_lo:[0,0,1] neg_hi:[0,0,1]
	buffer_load_dword v8, off, s[20:23], 0 offset:92 ; 4-byte Folded Reload
	v_sub_f16_e32 v2, v1, v2
	v_pack_b32_f16 v111, v0, v2
	buffer_load_dword v0, off, s[20:23], 0 offset:88 ; 4-byte Folded Reload
	v_pk_add_f16 v5, v4, v14 neg_lo:[0,1] neg_hi:[0,1]
	v_pk_fma_f16 v4, v4, 2.0, v5 op_sel_hi:[1,0,1] neg_lo:[0,0,1] neg_hi:[0,0,1]
	v_fma_f16 v1, v1, 2.0, -v2
	v_pack_b32_f16 v109, v3, v1
	s_waitcnt vmcnt(1)
	ds_write_b128 v8, v[53:56]
	v_pk_add_f16 v55, v4, v7 neg_lo:[0,1] neg_hi:[0,1]
	v_lshrrev_b32_e32 v7, 16, v5
	v_pk_fma_f16 v53, v4, 2.0, v55 op_sel_hi:[1,0,1] neg_lo:[0,0,1] neg_hi:[0,0,1]
	v_add_f16_sdwa v4, v5, v6 dst_sel:DWORD dst_unused:UNUSED_PAD src0_sel:DWORD src1_sel:WORD_1
	v_sub_f16_e32 v6, v7, v6
	v_fma_f16 v5, v5, 2.0, -v4
	v_fma_f16 v7, v7, 2.0, -v6
	s_waitcnt vmcnt(0)
	ds_write_b128 v0, v[108:111]
	v_pack_b32_f16 v56, v4, v6
	v_pack_b32_f16 v54, v5, v7
	v_lshlrev_b32_e32 v0, 4, v86
	ds_write_b128 v0, v[53:56] offset:32000
	s_waitcnt lgkmcnt(0)
	s_barrier
	ds_read_b32 v54, v73 offset:8000
	ds_read_b32 v53, v73 offset:6000
	ds_read_b32 v1, v73 offset:10000
	ds_read_b32 v2, v73 offset:12000
	ds_read_b32 v3, v73 offset:24000
	ds_read_b32 v4, v73 offset:32000
	ds_read_b32 v5, v73 offset:16000
	ds_read_b32 v6, v73 offset:18000
	ds_read_b32 v7, v73 offset:20000
	ds_read_b32 v8, v73 offset:22000
	ds_read_b32 v9, v73 offset:14000
	s_waitcnt lgkmcnt(4)
	v_lshrrev_b32_e32 v10, 16, v5
	v_lshrrev_b32_e32 v11, 16, v3
	;; [unrolled: 1-line block ×3, first 2 shown]
	v_mul_f16_sdwa v52, v24, v54 dst_sel:DWORD dst_unused:UNUSED_PAD src0_sel:WORD_1 src1_sel:DWORD
	v_mul_f16_sdwa v19, v24, v0 dst_sel:DWORD dst_unused:UNUSED_PAD src0_sel:WORD_1 src1_sel:DWORD
	v_fma_f16 v0, v24, v0, -v52
	v_mul_f16_sdwa v52, v25, v10 dst_sel:DWORD dst_unused:UNUSED_PAD src0_sel:WORD_1 src1_sel:DWORD
	v_fma_f16 v52, v25, v5, v52
	v_mul_f16_sdwa v5, v25, v5 dst_sel:DWORD dst_unused:UNUSED_PAD src0_sel:WORD_1 src1_sel:DWORD
	v_fma_f16 v5, v25, v10, -v5
	v_mul_f16_sdwa v10, v26, v11 dst_sel:DWORD dst_unused:UNUSED_PAD src0_sel:WORD_1 src1_sel:DWORD
	v_lshrrev_b32_e32 v15, 16, v4
	v_fma_f16 v10, v26, v3, v10
	v_mul_f16_sdwa v3, v26, v3 dst_sel:DWORD dst_unused:UNUSED_PAD src0_sel:WORD_1 src1_sel:DWORD
	v_fma_f16 v3, v26, v11, -v3
	v_mul_f16_sdwa v11, v27, v15 dst_sel:DWORD dst_unused:UNUSED_PAD src0_sel:WORD_1 src1_sel:DWORD
	v_lshrrev_b32_e32 v16, 16, v1
	v_fma_f16 v11, v27, v4, v11
	v_mul_f16_sdwa v4, v27, v4 dst_sel:DWORD dst_unused:UNUSED_PAD src0_sel:WORD_1 src1_sel:DWORD
	ds_read_b32 v12, v73 offset:26000
	ds_read_b32 v13, v73 offset:28000
	;; [unrolled: 1-line block ×3, first 2 shown]
	v_fma_f16 v4, v27, v15, -v4
	v_mul_f16_sdwa v15, v24, v16 dst_sel:DWORD dst_unused:UNUSED_PAD src0_sel:WORD_1 src1_sel:DWORD
	s_waitcnt lgkmcnt(6)
	v_lshrrev_b32_e32 v17, 16, v6
	v_fma_f16 v114, v24, v1, v15
	v_mul_f16_sdwa v1, v24, v1 dst_sel:DWORD dst_unused:UNUSED_PAD src0_sel:WORD_1 src1_sel:DWORD
	v_fma_f16 v110, v24, v16, -v1
	v_mul_f16_sdwa v1, v25, v17 dst_sel:DWORD dst_unused:UNUSED_PAD src0_sel:WORD_1 src1_sel:DWORD
	s_waitcnt lgkmcnt(2)
	v_lshrrev_b32_e32 v18, 16, v12
	v_fma_f16 v115, v25, v6, v1
	v_mul_f16_sdwa v1, v25, v6 dst_sel:DWORD dst_unused:UNUSED_PAD src0_sel:WORD_1 src1_sel:DWORD
	v_fma_f16 v112, v25, v17, -v1
	v_mul_f16_sdwa v1, v26, v18 dst_sel:DWORD dst_unused:UNUSED_PAD src0_sel:WORD_1 src1_sel:DWORD
	v_fma_f16 v117, v26, v12, v1
	v_mul_f16_sdwa v1, v26, v12 dst_sel:DWORD dst_unused:UNUSED_PAD src0_sel:WORD_1 src1_sel:DWORD
	v_fma_f16 v113, v26, v18, -v1
	ds_read_b32 v1, v73 offset:34000
	ds_read_b32 v6, v73 offset:36000
	;; [unrolled: 1-line block ×3, first 2 shown]
	ds_read_b32 v15, v73
	ds_read_b32 v118, v73 offset:2000
	ds_read_b32 v91, v73 offset:4000
	s_waitcnt lgkmcnt(5)
	v_lshrrev_b32_e32 v16, 16, v1
	v_mul_f16_sdwa v17, v27, v16 dst_sel:DWORD dst_unused:UNUSED_PAD src0_sel:WORD_1 src1_sel:DWORD
	v_fma_f16 v119, v27, v1, v17
	v_mul_f16_sdwa v1, v27, v1 dst_sel:DWORD dst_unused:UNUSED_PAD src0_sel:WORD_1 src1_sel:DWORD
	v_fma_f16 v116, v27, v16, -v1
	v_lshrrev_b32_e32 v1, 16, v2
	v_mul_f16_sdwa v16, v24, v1 dst_sel:DWORD dst_unused:UNUSED_PAD src0_sel:WORD_1 src1_sel:DWORD
	v_fma_f16 v95, v24, v2, v16
	v_mul_f16_sdwa v2, v24, v2 dst_sel:DWORD dst_unused:UNUSED_PAD src0_sel:WORD_1 src1_sel:DWORD
	v_fma_f16 v88, v24, v1, -v2
	;; [unrolled: 5-line block ×4, first 2 shown]
	s_waitcnt lgkmcnt(4)
	v_lshrrev_b32_e32 v1, 16, v6
	v_mul_f16_sdwa v2, v27, v1 dst_sel:DWORD dst_unused:UNUSED_PAD src0_sel:WORD_1 src1_sel:DWORD
	v_fma_f16 v111, v27, v6, v2
	v_mul_f16_sdwa v2, v27, v6 dst_sel:DWORD dst_unused:UNUSED_PAD src0_sel:WORD_1 src1_sel:DWORD
	v_fma_f16 v94, v27, v1, -v2
	v_lshrrev_b32_e32 v1, 16, v9
	v_mul_f16_sdwa v2, v24, v1 dst_sel:DWORD dst_unused:UNUSED_PAD src0_sel:WORD_1 src1_sel:DWORD
	v_fma_f16 v19, v24, v54, v19
	v_fma_f16 v54, v24, v9, v2
	v_mul_f16_sdwa v2, v24, v9 dst_sel:DWORD dst_unused:UNUSED_PAD src0_sel:WORD_1 src1_sel:DWORD
	v_fma_f16 v24, v24, v1, -v2
	v_lshrrev_b32_e32 v1, 16, v8
	v_mul_f16_sdwa v2, v25, v1 dst_sel:DWORD dst_unused:UNUSED_PAD src0_sel:WORD_1 src1_sel:DWORD
	v_fma_f16 v55, v25, v8, v2
	v_mul_f16_sdwa v2, v25, v8 dst_sel:DWORD dst_unused:UNUSED_PAD src0_sel:WORD_1 src1_sel:DWORD
	v_fma_f16 v25, v25, v1, -v2
	v_lshrrev_b32_e32 v1, 16, v14
	v_mul_f16_sdwa v2, v26, v1 dst_sel:DWORD dst_unused:UNUSED_PAD src0_sel:WORD_1 src1_sel:DWORD
	v_fma_f16 v56, v26, v14, v2
	v_mul_f16_sdwa v2, v26, v14 dst_sel:DWORD dst_unused:UNUSED_PAD src0_sel:WORD_1 src1_sel:DWORD
	v_fma_f16 v26, v26, v1, -v2
	s_waitcnt lgkmcnt(3)
	v_lshrrev_b32_e32 v1, 16, v12
	v_mul_f16_sdwa v2, v27, v1 dst_sel:DWORD dst_unused:UNUSED_PAD src0_sel:WORD_1 src1_sel:DWORD
	v_fma_f16 v87, v27, v12, v2
	v_mul_f16_sdwa v2, v27, v12 dst_sel:DWORD dst_unused:UNUSED_PAD src0_sel:WORD_1 src1_sel:DWORD
	v_fma_f16 v27, v27, v1, -v2
	v_sub_f16_e32 v1, v19, v52
	v_sub_f16_e32 v2, v11, v10
	v_add_f16_e32 v1, v1, v2
	v_sub_f16_e32 v2, v0, v5
	v_sub_f16_e32 v6, v4, v3
	s_waitcnt lgkmcnt(2)
	v_lshrrev_b32_e32 v7, 16, v15
	v_add_f16_e32 v2, v2, v6
	v_add_f16_e32 v6, v15, v19
	;; [unrolled: 1-line block ×9, first 2 shown]
	v_pack_b32_f16 v6, v6, v8
	v_add_f16_e32 v8, v52, v10
	v_add_f16_e32 v14, v5, v3
	v_fma_f16 v8, v8, -0.5, v15
	v_sub_f16_e32 v9, v0, v4
	v_fma_f16 v14, v14, -0.5, v7
	v_sub_f16_e32 v16, v19, v11
	v_fma_f16 v12, v9, s13, v8
	v_sub_f16_e32 v13, v5, v3
	v_fma_f16 v17, v16, s0, v14
	;; [unrolled: 2-line block ×3, first 2 shown]
	v_fma_f16 v17, v18, s1, v17
	v_fma_f16 v12, v1, s7, v12
	;; [unrolled: 1-line block ×3, first 2 shown]
	v_pack_b32_f16 v12, v12, v17
	s_waitcnt lgkmcnt(0)
	s_barrier
	buffer_load_dword v17, off, s[20:23], 0 offset:84 ; 4-byte Folded Reload
	buffer_load_dword v120, off, s[20:23], 0 offset:80 ; 4-byte Folded Reload
	v_sub_f16_e32 v10, v10, v11
	v_sub_f16_e32 v3, v3, v4
	s_waitcnt vmcnt(1)
	ds_write2_b32 v17, v6, v12 offset1:4
	v_add_f16_e32 v6, v19, v11
	v_fma_f16 v6, v6, -0.5, v15
	v_sub_f16_e32 v12, v52, v19
	v_fma_f16 v11, v13, s0, v6
	v_fma_f16 v6, v13, s13, v6
	v_add_f16_e32 v10, v12, v10
	v_fma_f16 v11, v9, s12, v11
	v_fma_f16 v6, v9, s1, v6
	;; [unrolled: 1-line block ×4, first 2 shown]
	v_add_f16_e32 v10, v0, v4
	v_fma_f16 v7, v10, -0.5, v7
	v_sub_f16_e32 v0, v5, v0
	v_add_f16_e32 v0, v0, v3
	v_fma_f16 v3, v18, s13, v7
	v_fma_f16 v4, v18, s0, v7
	;; [unrolled: 1-line block ×6, first 2 shown]
	v_pack_b32_f16 v3, v11, v3
	v_pack_b32_f16 v0, v6, v0
	ds_write2_b32 v17, v3, v0 offset0:8 offset1:12
	v_fma_f16 v0, v9, s0, v8
	v_fma_f16 v0, v13, s1, v0
	;; [unrolled: 1-line block ×6, first 2 shown]
	v_pack_b32_f16 v0, v0, v1
	ds_write_b32 v17, v0 offset:64
	v_sub_f16_e32 v0, v114, v115
	v_sub_f16_e32 v1, v119, v117
	v_add_f16_e32 v0, v0, v1
	v_sub_f16_e32 v1, v110, v112
	v_sub_f16_e32 v2, v116, v113
	v_lshrrev_b32_e32 v3, 16, v118
	v_add_f16_e32 v1, v1, v2
	v_add_f16_e32 v2, v118, v114
	;; [unrolled: 1-line block ×9, first 2 shown]
	v_pack_b32_f16 v2, v2, v4
	v_add_f16_e32 v4, v115, v117
	v_add_f16_e32 v8, v112, v113
	v_fma_f16 v4, v4, -0.5, v118
	v_sub_f16_e32 v5, v110, v116
	v_fma_f16 v8, v8, -0.5, v3
	v_sub_f16_e32 v9, v114, v119
	v_fma_f16 v6, v5, s13, v4
	v_sub_f16_e32 v7, v112, v113
	v_sub_f16_e32 v10, v115, v117
	v_fma_f16 v11, v9, s0, v8
	v_fma_f16 v6, v7, s12, v6
	;; [unrolled: 1-line block ×5, first 2 shown]
	v_pack_b32_f16 v6, v6, v11
	s_waitcnt vmcnt(0)
	ds_write2_b32 v120, v2, v6 offset1:4
	v_fma_f16 v2, v5, s0, v4
	v_fma_f16 v2, v7, s1, v2
	;; [unrolled: 1-line block ×3, first 2 shown]
	v_sub_f16_e32 v2, v115, v114
	v_sub_f16_e32 v4, v117, v119
	v_add_f16_e32 v2, v2, v4
	v_add_f16_e32 v4, v114, v119
	v_fma_f16 v4, v4, -0.5, v118
	v_fma_f16 v6, v7, s0, v4
	v_fma_f16 v4, v7, s13, v4
	;; [unrolled: 1-line block ×9, first 2 shown]
	v_add_f16_e32 v4, v110, v116
	v_fma_f16 v3, v4, -0.5, v3
	v_sub_f16_e32 v4, v112, v110
	v_sub_f16_e32 v6, v113, v116
	v_add_f16_e32 v4, v4, v6
	v_fma_f16 v6, v10, s13, v3
	v_fma_f16 v3, v10, s0, v3
	;; [unrolled: 1-line block ×6, first 2 shown]
	v_pack_b32_f16 v5, v5, v6
	v_pack_b32_f16 v2, v2, v3
	ds_write2_b32 v120, v5, v2 offset0:8 offset1:12
	buffer_load_dword v2, off, s[20:23], 0 offset:72 ; 4-byte Folded Reload
	v_sub_f16_e32 v4, v95, v108
	v_sub_f16_e32 v7, v111, v109
	v_add_f16_e32 v4, v4, v7
	v_add_f16_e32 v7, v108, v109
	v_fma_f16 v7, v7, -0.5, v91
	v_sub_f16_e32 v8, v88, v94
	v_fma_f16 v9, v8, s13, v7
	v_sub_f16_e32 v10, v92, v93
	v_fma_f16 v7, v8, s0, v7
	v_fma_f16 v9, v10, s12, v9
	v_fma_f16 v7, v10, s1, v7
	v_fma_f16 v9, v4, s7, v9
	v_fma_f16 v4, v4, s7, v7
	v_sub_f16_e32 v7, v108, v95
	v_sub_f16_e32 v11, v109, v111
	v_add_f16_e32 v7, v7, v11
	v_add_f16_e32 v11, v95, v111
	v_fma_f16 v11, v11, -0.5, v91
	v_fma_f16 v12, v10, s0, v11
	v_sub_f16_e32 v13, v88, v92
	v_sub_f16_e32 v14, v94, v93
	v_fma_f16 v10, v10, s13, v11
	v_fma_f16 v11, v8, s12, v12
	v_add_f16_e32 v13, v13, v14
	v_lshrrev_b32_e32 v14, 16, v91
	v_add_f16_e32 v15, v92, v93
	v_fma_f16 v8, v8, s1, v10
	v_fma_f16 v10, v7, s7, v11
	v_sub_f16_e32 v11, v95, v111
	v_fma_f16 v15, v15, -0.5, v14
	v_sub_f16_e32 v12, v108, v109
	v_fma_f16 v16, v11, s0, v15
	v_fma_f16 v15, v11, s13, v15
	;; [unrolled: 1-line block ×6, first 2 shown]
	v_add_f16_e32 v15, v88, v94
	v_fma_f16 v7, v7, s7, v8
	v_add_f16_e32 v8, v91, v95
	v_fma_f16 v15, v15, -0.5, v14
	v_add_f16_e32 v14, v14, v88
	v_add_f16_e32 v8, v8, v108
	;; [unrolled: 1-line block ×3, first 2 shown]
	v_sub_f16_e32 v17, v92, v88
	v_sub_f16_e32 v18, v93, v94
	v_add_f16_e32 v8, v8, v109
	v_add_f16_e32 v14, v14, v93
	;; [unrolled: 1-line block ×3, first 2 shown]
	v_fma_f16 v18, v12, s13, v15
	v_fma_f16 v12, v12, s0, v15
	v_add_f16_e32 v8, v8, v111
	v_add_f16_e32 v14, v14, v94
	v_fma_f16 v15, v11, s1, v18
	v_fma_f16 v11, v11, s12, v12
	v_pack_b32_f16 v0, v0, v1
	v_fma_f16 v12, v17, s7, v15
	v_fma_f16 v11, v17, s7, v11
	ds_write_b32 v120, v0 offset:64
	v_pack_b32_f16 v0, v8, v14
	v_pack_b32_f16 v1, v9, v16
	v_sub_f16_e32 v15, v54, v55
	v_sub_f16_e32 v17, v87, v56
	v_add_f16_e32 v15, v15, v17
	v_add_f16_e32 v17, v55, v56
	v_fma_f16 v17, v17, -0.5, v53
	v_sub_f16_e32 v18, v24, v27
	v_fma_f16 v19, v18, s13, v17
	v_sub_f16_e32 v52, v25, v26
	v_fma_f16 v17, v18, s0, v17
	v_fma_f16 v19, v52, s12, v19
	;; [unrolled: 1-line block ×5, first 2 shown]
	v_sub_f16_e32 v17, v55, v54
	v_sub_f16_e32 v88, v56, v87
	v_add_f16_e32 v17, v17, v88
	v_add_f16_e32 v88, v54, v87
	v_fma_f16 v88, v88, -0.5, v53
	s_waitcnt vmcnt(0)
	ds_write2_b32 v2, v0, v1 offset1:4
	v_pack_b32_f16 v0, v10, v12
	v_pack_b32_f16 v1, v7, v11
	ds_write2_b32 v2, v0, v1 offset0:8 offset1:12
	v_pack_b32_f16 v0, v4, v13
	ds_write_b32 v2, v0 offset:64
	buffer_load_dword v2, off, s[20:23], 0 offset:76 ; 4-byte Folded Reload
	v_fma_f16 v91, v52, s0, v88
	v_fma_f16 v52, v52, s13, v88
	;; [unrolled: 1-line block ×6, first 2 shown]
	v_add_f16_e32 v18, v53, v54
	v_add_f16_e32 v18, v18, v55
	;; [unrolled: 1-line block ×4, first 2 shown]
	v_sub_f16_e32 v54, v54, v87
	v_sub_f16_e32 v55, v55, v56
	;; [unrolled: 1-line block ×4, first 2 shown]
	v_add_f16_e32 v56, v56, v87
	v_lshrrev_b32_e32 v53, 16, v53
	v_add_f16_e32 v87, v25, v26
	v_fma_f16 v87, v87, -0.5, v53
	v_fma_f16 v88, v54, s0, v87
	v_fma_f16 v87, v54, s13, v87
	;; [unrolled: 1-line block ×6, first 2 shown]
	v_add_f16_e32 v87, v24, v27
	v_fma_f16 v87, v87, -0.5, v53
	v_add_f16_e32 v53, v53, v24
	v_add_f16_e32 v53, v53, v25
	v_sub_f16_e32 v24, v25, v24
	v_add_f16_e32 v25, v53, v26
	v_sub_f16_e32 v26, v26, v27
	v_add_f16_e32 v25, v25, v27
	v_add_f16_e32 v24, v24, v26
	v_fma_f16 v26, v55, s13, v87
	v_fma_f16 v27, v55, s0, v87
	;; [unrolled: 1-line block ×6, first 2 shown]
	v_pack_b32_f16 v0, v18, v25
	v_pack_b32_f16 v1, v19, v88
	s_waitcnt vmcnt(0)
	ds_write2_b32 v2, v0, v1 offset1:4
	v_pack_b32_f16 v0, v52, v26
	v_pack_b32_f16 v1, v17, v24
	ds_write2_b32 v2, v0, v1 offset0:8 offset1:12
	v_pack_b32_f16 v0, v15, v56
	ds_write_b32 v2, v0 offset:64
	s_waitcnt lgkmcnt(0)
	s_barrier
	ds_read_b32 v54, v73 offset:8000
	ds_read_b32 v26, v73
	ds_read_b32 v25, v73 offset:2000
	ds_read_b32 v24, v73 offset:4000
	;; [unrolled: 1-line block ×6, first 2 shown]
	s_waitcnt lgkmcnt(7)
	v_lshrrev_b32_e32 v2, 16, v54
	ds_read_b32 v3, v73 offset:10000
	ds_read_b32 v4, v73 offset:12000
	;; [unrolled: 1-line block ×8, first 2 shown]
	v_mul_f16_sdwa v52, v74, v2 dst_sel:DWORD dst_unused:UNUSED_PAD src0_sel:WORD_1 src1_sel:DWORD
	s_waitcnt lgkmcnt(5)
	v_lshrrev_b32_e32 v11, 16, v5
	ds_read_b32 v12, v73 offset:32000
	v_fma_f16 v52, v74, v54, v52
	v_mul_f16_sdwa v54, v74, v54 dst_sel:DWORD dst_unused:UNUSED_PAD src0_sel:WORD_1 src1_sel:DWORD
	v_fma_f16 v2, v74, v2, -v54
	v_mul_f16_sdwa v54, v75, v11 dst_sel:DWORD dst_unused:UNUSED_PAD src0_sel:WORD_1 src1_sel:DWORD
	s_waitcnt lgkmcnt(3)
	v_lshrrev_b32_e32 v13, 16, v8
	v_fma_f16 v54, v75, v5, v54
	v_mul_f16_sdwa v5, v75, v5 dst_sel:DWORD dst_unused:UNUSED_PAD src0_sel:WORD_1 src1_sel:DWORD
	v_fma_f16 v5, v75, v11, -v5
	v_mul_f16_sdwa v11, v76, v13 dst_sel:DWORD dst_unused:UNUSED_PAD src0_sel:WORD_1 src1_sel:DWORD
	v_lshrrev_b32_e32 v18, 16, v3
	v_fma_f16 v11, v76, v8, v11
	v_mul_f16_sdwa v8, v76, v8 dst_sel:DWORD dst_unused:UNUSED_PAD src0_sel:WORD_1 src1_sel:DWORD
	ds_read_b32 v14, v73 offset:26000
	ds_read_b32 v15, v73 offset:28000
	;; [unrolled: 1-line block ×3, first 2 shown]
	s_waitcnt lgkmcnt(3)
	v_lshrrev_b32_e32 v17, 16, v12
	v_fma_f16 v8, v76, v13, -v8
	v_mul_f16_sdwa v76, v69, v18 dst_sel:DWORD dst_unused:UNUSED_PAD src0_sel:WORD_1 src1_sel:DWORD
	v_lshrrev_b32_e32 v19, 16, v6
	v_mul_f16_sdwa v13, v77, v17 dst_sel:DWORD dst_unused:UNUSED_PAD src0_sel:WORD_1 src1_sel:DWORD
	v_fma_f16 v76, v69, v3, v76
	v_mul_f16_sdwa v3, v69, v3 dst_sel:DWORD dst_unused:UNUSED_PAD src0_sel:WORD_1 src1_sel:DWORD
	v_fma_f16 v13, v77, v12, v13
	v_mul_f16_sdwa v12, v77, v12 dst_sel:DWORD dst_unused:UNUSED_PAD src0_sel:WORD_1 src1_sel:DWORD
	v_fma_f16 v3, v69, v18, -v3
	v_mul_f16_sdwa v18, v70, v19 dst_sel:DWORD dst_unused:UNUSED_PAD src0_sel:WORD_1 src1_sel:DWORD
	v_fma_f16 v12, v77, v17, -v12
	s_waitcnt lgkmcnt(2)
	v_lshrrev_b32_e32 v17, 16, v14
	v_fma_f16 v18, v70, v6, v18
	v_mul_f16_sdwa v6, v70, v6 dst_sel:DWORD dst_unused:UNUSED_PAD src0_sel:WORD_1 src1_sel:DWORD
	v_fma_f16 v6, v70, v19, -v6
	v_mul_f16_sdwa v19, v71, v17 dst_sel:DWORD dst_unused:UNUSED_PAD src0_sel:WORD_1 src1_sel:DWORD
	v_lshrrev_b32_e32 v56, 16, v53
	v_fma_f16 v19, v71, v14, v19
	v_mul_f16_sdwa v14, v71, v14 dst_sel:DWORD dst_unused:UNUSED_PAD src0_sel:WORD_1 src1_sel:DWORD
	v_fma_f16 v14, v71, v17, -v14
	v_mul_f16_sdwa v17, v72, v56 dst_sel:DWORD dst_unused:UNUSED_PAD src0_sel:WORD_1 src1_sel:DWORD
	;; [unrolled: 5-line block ×4, first 2 shown]
	s_waitcnt lgkmcnt(1)
	v_lshrrev_b32_e32 v56, 16, v15
	v_fma_f16 v65, v66, v7, v65
	v_mul_f16_sdwa v7, v66, v7 dst_sel:DWORD dst_unused:UNUSED_PAD src0_sel:WORD_1 src1_sel:DWORD
	v_fma_f16 v7, v66, v75, -v7
	v_mul_f16_sdwa v66, v67, v56 dst_sel:DWORD dst_unused:UNUSED_PAD src0_sel:WORD_1 src1_sel:DWORD
	v_lshrrev_b32_e32 v69, 16, v27
	v_fma_f16 v66, v67, v15, v66
	v_mul_f16_sdwa v15, v67, v15 dst_sel:DWORD dst_unused:UNUSED_PAD src0_sel:WORD_1 src1_sel:DWORD
	v_fma_f16 v15, v67, v56, -v15
	v_mul_f16_sdwa v56, v68, v69 dst_sel:DWORD dst_unused:UNUSED_PAD src0_sel:WORD_1 src1_sel:DWORD
	;; [unrolled: 5-line block ×4, first 2 shown]
	s_waitcnt lgkmcnt(0)
	v_lshrrev_b32_e32 v67, 16, v16
	v_fma_f16 v61, v62, v9, v61
	v_mul_f16_sdwa v9, v62, v9 dst_sel:DWORD dst_unused:UNUSED_PAD src0_sel:WORD_1 src1_sel:DWORD
	v_fma_f16 v9, v62, v71, -v9
	v_mul_f16_sdwa v62, v63, v67 dst_sel:DWORD dst_unused:UNUSED_PAD src0_sel:WORD_1 src1_sel:DWORD
	v_lshrrev_b32_e32 v68, 16, v0
	v_fma_f16 v62, v63, v16, v62
	v_mul_f16_sdwa v16, v63, v16 dst_sel:DWORD dst_unused:UNUSED_PAD src0_sel:WORD_1 src1_sel:DWORD
	v_fma_f16 v16, v63, v67, -v16
	v_mul_f16_sdwa v63, v64, v68 dst_sel:DWORD dst_unused:UNUSED_PAD src0_sel:WORD_1 src1_sel:DWORD
	v_fma_f16 v63, v64, v0, v63
	v_mul_f16_sdwa v0, v64, v0 dst_sel:DWORD dst_unused:UNUSED_PAD src0_sel:WORD_1 src1_sel:DWORD
	v_add_f16_e32 v67, v54, v11
	v_fma_f16 v0, v64, v68, -v0
	v_fma_f16 v67, v67, -0.5, v26
	v_sub_f16_e32 v68, v2, v12
	v_fma_f16 v70, v68, s13, v67
	v_sub_f16_e32 v71, v5, v8
	v_sub_f16_e32 v74, v52, v54
	;; [unrolled: 1-line block ×3, first 2 shown]
	v_fma_f16 v67, v68, s0, v67
	v_fma_f16 v70, v71, s12, v70
	v_add_f16_e32 v74, v74, v75
	v_fma_f16 v67, v71, s1, v67
	v_add_f16_e32 v64, v26, v52
	v_fma_f16 v70, v74, s7, v70
	v_fma_f16 v67, v74, s7, v67
	v_add_f16_e32 v74, v52, v13
	v_lshrrev_b32_e32 v1, 16, v26
	v_add_f16_e32 v64, v64, v54
	v_fma_f16 v26, v74, -0.5, v26
	v_sub_f16_e32 v74, v54, v52
	v_sub_f16_e32 v75, v11, v13
	v_add_f16_e32 v64, v64, v11
	v_add_f16_e32 v74, v74, v75
	v_fma_f16 v75, v71, s0, v26
	v_fma_f16 v26, v71, s13, v26
	v_add_f16_e32 v71, v5, v8
	v_add_f16_e32 v64, v64, v13
	v_fma_f16 v75, v68, s12, v75
	v_fma_f16 v26, v68, s1, v26
	v_fma_f16 v71, v71, -0.5, v1
	v_sub_f16_e32 v13, v52, v13
	v_fma_f16 v75, v74, s7, v75
	v_fma_f16 v26, v74, s7, v26
	;; [unrolled: 1-line block ×3, first 2 shown]
	v_sub_f16_e32 v11, v54, v11
	v_sub_f16_e32 v54, v2, v5
	;; [unrolled: 1-line block ×3, first 2 shown]
	v_fma_f16 v71, v13, s13, v71
	v_fma_f16 v52, v11, s1, v52
	v_add_f16_e32 v54, v54, v74
	v_fma_f16 v71, v11, s12, v71
	v_fma_f16 v52, v54, s7, v52
	;; [unrolled: 1-line block ×3, first 2 shown]
	v_add_f16_e32 v71, v2, v12
	v_add_f16_e32 v68, v1, v2
	v_fma_f16 v1, v71, -0.5, v1
	v_add_f16_e32 v68, v68, v5
	v_fma_f16 v71, v11, s13, v1
	v_sub_f16_e32 v2, v5, v2
	v_sub_f16_e32 v5, v8, v12
	v_fma_f16 v1, v11, s0, v1
	v_fma_f16 v71, v13, s1, v71
	v_add_f16_e32 v2, v2, v5
	v_fma_f16 v1, v13, s12, v1
	v_fma_f16 v5, v2, s7, v71
	;; [unrolled: 1-line block ×3, first 2 shown]
	v_add_f16_e32 v2, v18, v19
	v_add_f16_e32 v68, v68, v8
	v_fma_f16 v2, v2, -0.5, v25
	v_sub_f16_e32 v8, v3, v53
	v_add_f16_e32 v68, v68, v12
	v_fma_f16 v11, v8, s13, v2
	v_sub_f16_e32 v12, v6, v14
	v_sub_f16_e32 v13, v76, v18
	;; [unrolled: 1-line block ×3, first 2 shown]
	v_fma_f16 v2, v8, s0, v2
	v_fma_f16 v11, v12, s12, v11
	v_add_f16_e32 v13, v13, v71
	v_fma_f16 v2, v12, s1, v2
	v_fma_f16 v11, v13, s7, v11
	v_fma_f16 v2, v13, s7, v2
	v_add_f16_e32 v13, v76, v17
	v_fma_f16 v13, v13, -0.5, v25
	v_sub_f16_e32 v71, v18, v76
	v_sub_f16_e32 v74, v19, v17
	v_add_f16_e32 v71, v71, v74
	v_fma_f16 v74, v12, s0, v13
	v_fma_f16 v12, v12, s13, v13
	v_lshrrev_b32_e32 v13, 16, v25
	v_add_f16_e32 v25, v25, v76
	v_add_f16_e32 v25, v25, v18
	v_fma_f16 v74, v8, s12, v74
	v_fma_f16 v8, v8, s1, v12
	v_add_f16_e32 v25, v25, v19
	v_fma_f16 v74, v71, s7, v74
	v_fma_f16 v8, v71, s7, v8
	v_add_f16_e32 v71, v6, v14
	v_add_f16_e32 v25, v25, v17
	v_fma_f16 v71, v71, -0.5, v13
	v_sub_f16_e32 v17, v76, v17
	v_sub_f16_e32 v18, v18, v19
	;; [unrolled: 1-line block ×4, first 2 shown]
	v_add_f16_e32 v19, v19, v76
	v_fma_f16 v76, v17, s0, v71
	v_fma_f16 v71, v17, s13, v71
	;; [unrolled: 1-line block ×6, first 2 shown]
	v_add_f16_e32 v71, v3, v53
	v_add_f16_e32 v12, v13, v3
	v_fma_f16 v13, v71, -0.5, v13
	v_add_f16_e32 v12, v12, v6
	v_fma_f16 v71, v18, s13, v13
	v_sub_f16_e32 v3, v6, v3
	v_sub_f16_e32 v6, v14, v53
	v_fma_f16 v13, v18, s0, v13
	v_fma_f16 v71, v17, s1, v71
	v_add_f16_e32 v3, v3, v6
	v_fma_f16 v13, v17, s12, v13
	v_fma_f16 v6, v3, s7, v71
	;; [unrolled: 1-line block ×3, first 2 shown]
	v_add_f16_e32 v13, v65, v66
	v_add_f16_e32 v12, v12, v14
	v_fma_f16 v13, v13, -0.5, v24
	v_sub_f16_e32 v14, v4, v27
	v_add_f16_e32 v12, v12, v53
	v_fma_f16 v17, v14, s13, v13
	v_sub_f16_e32 v18, v7, v15
	v_sub_f16_e32 v53, v72, v65
	;; [unrolled: 1-line block ×3, first 2 shown]
	v_fma_f16 v13, v14, s0, v13
	v_fma_f16 v17, v18, s12, v17
	v_add_f16_e32 v53, v53, v71
	v_fma_f16 v13, v18, s1, v13
	v_fma_f16 v17, v53, s7, v17
	v_fma_f16 v13, v53, s7, v13
	v_sub_f16_e32 v53, v65, v72
	v_sub_f16_e32 v71, v66, v56
	v_add_f16_e32 v53, v53, v71
	v_add_f16_e32 v71, v72, v56
	v_fma_f16 v71, v71, -0.5, v24
	v_fma_f16 v77, v18, s0, v71
	v_fma_f16 v18, v18, s13, v71
	;; [unrolled: 1-line block ×4, first 2 shown]
	v_lshrrev_b32_e32 v18, 16, v24
	v_add_f16_e32 v24, v24, v72
	v_add_f16_e32 v24, v24, v65
	;; [unrolled: 1-line block ×3, first 2 shown]
	v_fma_f16 v71, v53, s7, v71
	v_fma_f16 v14, v53, s7, v14
	v_add_f16_e32 v53, v7, v15
	v_add_f16_e32 v24, v24, v56
	v_fma_f16 v53, v53, -0.5, v18
	v_sub_f16_e32 v56, v72, v56
	v_sub_f16_e32 v65, v65, v66
	;; [unrolled: 1-line block ×4, first 2 shown]
	v_add_f16_e32 v66, v66, v72
	v_fma_f16 v72, v56, s0, v53
	v_fma_f16 v53, v56, s13, v53
	v_fma_f16 v72, v65, s1, v72
	v_fma_f16 v53, v65, s12, v53
	v_fma_f16 v72, v66, s7, v72
	v_fma_f16 v53, v66, s7, v53
	v_add_f16_e32 v66, v4, v27
	v_fma_f16 v66, v66, -0.5, v18
	v_add_f16_e32 v18, v18, v4
	v_add_f16_e32 v18, v18, v7
	v_sub_f16_e32 v4, v7, v4
	v_add_f16_e32 v7, v18, v15
	v_sub_f16_e32 v15, v15, v27
	v_fma_f16 v18, v65, s13, v66
	v_fma_f16 v18, v56, s1, v18
	v_add_f16_e32 v4, v4, v15
	v_fma_f16 v15, v4, s7, v18
	v_fma_f16 v18, v65, s0, v66
	;; [unrolled: 1-line block ×4, first 2 shown]
	v_add_f16_e32 v18, v61, v62
	v_add_f16_e32 v7, v7, v27
	v_fma_f16 v18, v18, -0.5, v55
	v_sub_f16_e32 v27, v10, v0
	v_sub_f16_e32 v56, v69, v61
	;; [unrolled: 1-line block ×3, first 2 shown]
	v_add_f16_e32 v56, v56, v65
	v_fma_f16 v65, v27, s13, v18
	v_sub_f16_e32 v66, v9, v16
	v_fma_f16 v18, v27, s0, v18
	v_fma_f16 v65, v66, s12, v65
	;; [unrolled: 1-line block ×5, first 2 shown]
	v_sub_f16_e32 v56, v61, v69
	v_sub_f16_e32 v77, v62, v63
	v_add_f16_e32 v56, v56, v77
	v_add_f16_e32 v77, v69, v63
	v_fma_f16 v77, v77, -0.5, v55
	v_fma_f16 v87, v66, s0, v77
	v_fma_f16 v66, v66, s13, v77
	;; [unrolled: 1-line block ×6, first 2 shown]
	v_add_f16_e32 v56, v55, v69
	v_add_f16_e32 v56, v56, v61
	;; [unrolled: 1-line block ×4, first 2 shown]
	v_sub_f16_e32 v63, v69, v63
	v_sub_f16_e32 v61, v61, v62
	;; [unrolled: 1-line block ×4, first 2 shown]
	v_add_f16_e32 v62, v62, v69
	v_lshrrev_b32_e32 v55, 16, v55
	v_add_f16_e32 v69, v9, v16
	v_fma_f16 v69, v69, -0.5, v55
	v_fma_f16 v77, v63, s0, v69
	v_fma_f16 v69, v63, s13, v69
	;; [unrolled: 1-line block ×6, first 2 shown]
	v_add_f16_e32 v69, v10, v0
	v_fma_f16 v69, v69, -0.5, v55
	v_add_f16_e32 v55, v55, v10
	v_add_f16_e32 v55, v55, v9
	v_sub_f16_e32 v9, v9, v10
	v_add_f16_e32 v10, v55, v16
	v_add_f16_e32 v10, v10, v0
	v_sub_f16_e32 v0, v16, v0
	v_add_f16_e32 v0, v9, v0
	v_fma_f16 v9, v61, s13, v69
	v_fma_f16 v16, v61, s0, v69
	v_pack_b32_f16 v5, v75, v5
	v_pack_b32_f16 v1, v26, v1
	v_fma_f16 v9, v63, s1, v9
	v_fma_f16 v16, v63, s12, v16
	s_barrier
	ds_write2_b32 v80, v5, v1 offset0:40 offset1:60
	v_pack_b32_f16 v1, v67, v54
	v_fma_f16 v9, v0, s7, v9
	v_fma_f16 v0, v0, s7, v16
	v_pack_b32_f16 v16, v64, v68
	v_pack_b32_f16 v52, v70, v52
	ds_write_b32 v80, v1 offset:320
	v_pack_b32_f16 v1, v25, v12
	v_pack_b32_f16 v5, v11, v76
	ds_write2_b32 v80, v16, v52 offset1:20
	ds_write2_b32 v81, v1, v5 offset1:20
	v_pack_b32_f16 v1, v74, v6
	v_pack_b32_f16 v3, v8, v3
	ds_write2_b32 v81, v1, v3 offset0:40 offset1:60
	v_pack_b32_f16 v1, v2, v19
	ds_write_b32 v81, v1 offset:320
	v_pack_b32_f16 v1, v24, v7
	v_pack_b32_f16 v2, v17, v72
	ds_write2_b32 v82, v1, v2 offset1:20
	v_pack_b32_f16 v1, v71, v15
	v_pack_b32_f16 v2, v14, v4
	ds_write2_b32 v82, v1, v2 offset0:40 offset1:60
	v_pack_b32_f16 v1, v13, v53
	ds_write_b32 v82, v1 offset:320
	v_pack_b32_f16 v1, v56, v10
	v_pack_b32_f16 v2, v65, v77
	ds_write2_b32 v83, v1, v2 offset1:20
	v_pack_b32_f16 v1, v66, v9
	v_pack_b32_f16 v0, v27, v0
	ds_write2_b32 v83, v1, v0 offset0:40 offset1:60
	v_pack_b32_f16 v0, v18, v62
	ds_write_b32 v83, v0 offset:320
	s_waitcnt lgkmcnt(0)
	s_barrier
	ds_read_b32 v9, v73
	ds_read_b32 v1, v73 offset:4000
	ds_read_b32 v2, v73 offset:36000
	;; [unrolled: 1-line block ×6, first 2 shown]
	s_waitcnt lgkmcnt(5)
	v_lshrrev_b32_e32 v6, 16, v1
	v_mul_f16_sdwa v72, v57, v6 dst_sel:DWORD dst_unused:UNUSED_PAD src0_sel:WORD_1 src1_sel:DWORD
	s_waitcnt lgkmcnt(3)
	v_lshrrev_b32_e32 v7, 16, v4
	v_fma_f16 v72, v57, v1, v72
	v_mul_f16_sdwa v1, v57, v1 dst_sel:DWORD dst_unused:UNUSED_PAD src0_sel:WORD_1 src1_sel:DWORD
	v_fma_f16 v57, v57, v6, -v1
	v_mul_f16_sdwa v1, v58, v7 dst_sel:DWORD dst_unused:UNUSED_PAD src0_sel:WORD_1 src1_sel:DWORD
	ds_read_b32 v8, v73 offset:12000
	ds_read_b32 v12, v73 offset:16000
	;; [unrolled: 1-line block ×8, first 2 shown]
	s_waitcnt lgkmcnt(7)
	v_lshrrev_b32_e32 v19, 16, v8
	v_fma_f16 v74, v58, v4, v1
	v_mul_f16_sdwa v1, v58, v4 dst_sel:DWORD dst_unused:UNUSED_PAD src0_sel:WORD_1 src1_sel:DWORD
	v_fma_f16 v58, v58, v7, -v1
	v_mul_f16_sdwa v1, v59, v19 dst_sel:DWORD dst_unused:UNUSED_PAD src0_sel:WORD_1 src1_sel:DWORD
	s_waitcnt lgkmcnt(6)
	v_lshrrev_b32_e32 v24, 16, v12
	v_fma_f16 v75, v59, v8, v1
	v_mul_f16_sdwa v1, v59, v8 dst_sel:DWORD dst_unused:UNUSED_PAD src0_sel:WORD_1 src1_sel:DWORD
	v_fma_f16 v19, v59, v19, -v1
	v_mul_f16_sdwa v1, v60, v24 dst_sel:DWORD dst_unused:UNUSED_PAD src0_sel:WORD_1 src1_sel:DWORD
	s_waitcnt lgkmcnt(3)
	v_lshrrev_b32_e32 v25, 16, v15
	ds_read_b32 v26, v73 offset:28000
	ds_read_b32 v27, v73 offset:32000
	v_fma_f16 v59, v60, v12, v1
	v_mul_f16_sdwa v1, v60, v12 dst_sel:DWORD dst_unused:UNUSED_PAD src0_sel:WORD_1 src1_sel:DWORD
	v_fma_f16 v12, v60, v24, -v1
	v_mul_f16_sdwa v1, v20, v25 dst_sel:DWORD dst_unused:UNUSED_PAD src0_sel:WORD_1 src1_sel:DWORD
	v_lshrrev_b32_e32 v52, 16, v13
	v_fma_f16 v24, v20, v15, v1
	v_mul_f16_sdwa v1, v20, v15 dst_sel:DWORD dst_unused:UNUSED_PAD src0_sel:WORD_1 src1_sel:DWORD
	v_fma_f16 v15, v20, v25, -v1
	v_mul_f16_sdwa v1, v21, v52 dst_sel:DWORD dst_unused:UNUSED_PAD src0_sel:WORD_1 src1_sel:DWORD
	s_waitcnt lgkmcnt(1)
	v_lshrrev_b32_e32 v55, 16, v26
	v_fma_f16 v20, v21, v13, v1
	v_mul_f16_sdwa v1, v21, v13 dst_sel:DWORD dst_unused:UNUSED_PAD src0_sel:WORD_1 src1_sel:DWORD
	v_fma_f16 v13, v21, v52, -v1
	v_mul_f16_sdwa v1, v22, v55 dst_sel:DWORD dst_unused:UNUSED_PAD src0_sel:WORD_1 src1_sel:DWORD
	s_waitcnt lgkmcnt(0)
	v_lshrrev_b32_e32 v56, 16, v27
	v_fma_f16 v21, v22, v26, v1
	v_mul_f16_sdwa v1, v22, v26 dst_sel:DWORD dst_unused:UNUSED_PAD src0_sel:WORD_1 src1_sel:DWORD
	v_fma_f16 v22, v22, v55, -v1
	v_mul_f16_sdwa v1, v23, v56 dst_sel:DWORD dst_unused:UNUSED_PAD src0_sel:WORD_1 src1_sel:DWORD
	v_lshrrev_b32_e32 v62, 16, v2
	v_fma_f16 v25, v23, v27, v1
	v_mul_f16_sdwa v1, v23, v27 dst_sel:DWORD dst_unused:UNUSED_PAD src0_sel:WORD_1 src1_sel:DWORD
	v_fma_f16 v23, v23, v56, -v1
	v_mul_f16_sdwa v1, v79, v62 dst_sel:DWORD dst_unused:UNUSED_PAD src0_sel:WORD_1 src1_sel:DWORD
	v_lshrrev_b32_e32 v63, 16, v5
	v_fma_f16 v26, v79, v2, v1
	v_mul_f16_sdwa v1, v79, v2 dst_sel:DWORD dst_unused:UNUSED_PAD src0_sel:WORD_1 src1_sel:DWORD
	v_lshrrev_b32_e32 v64, 16, v18
	v_fma_f16 v27, v79, v62, -v1
	v_mul_f16_sdwa v1, v28, v63 dst_sel:DWORD dst_unused:UNUSED_PAD src0_sel:WORD_1 src1_sel:DWORD
	ds_read_b32 v53, v73 offset:30000
	ds_read_b32 v54, v73 offset:26000
	;; [unrolled: 1-line block ×3, first 2 shown]
	v_fma_f16 v8, v28, v5, v1
	v_mul_f16_sdwa v1, v28, v5 dst_sel:DWORD dst_unused:UNUSED_PAD src0_sel:WORD_1 src1_sel:DWORD
	v_mul_f16_sdwa v2, v29, v64 dst_sel:DWORD dst_unused:UNUSED_PAD src0_sel:WORD_1 src1_sel:DWORD
	v_lshrrev_b32_e32 v65, 16, v17
	v_lshrrev_b32_e32 v66, 16, v16
	v_fma_f16 v1, v28, v63, -v1
	v_fma_f16 v28, v29, v18, v2
	v_mul_f16_sdwa v2, v29, v18 dst_sel:DWORD dst_unused:UNUSED_PAD src0_sel:WORD_1 src1_sel:DWORD
	v_fma_f16 v18, v29, v64, -v2
	v_mul_f16_sdwa v2, v30, v65 dst_sel:DWORD dst_unused:UNUSED_PAD src0_sel:WORD_1 src1_sel:DWORD
	v_mul_f16_sdwa v4, v31, v66 dst_sel:DWORD dst_unused:UNUSED_PAD src0_sel:WORD_1 src1_sel:DWORD
	v_lshrrev_b32_e32 v67, 16, v14
	v_fma_f16 v5, v30, v17, v2
	v_mul_f16_sdwa v2, v30, v17 dst_sel:DWORD dst_unused:UNUSED_PAD src0_sel:WORD_1 src1_sel:DWORD
	v_fma_f16 v17, v31, v16, v4
	v_mul_f16_sdwa v4, v31, v16 dst_sel:DWORD dst_unused:UNUSED_PAD src0_sel:WORD_1 src1_sel:DWORD
	v_fma_f16 v16, v31, v66, -v4
	v_mul_f16_sdwa v4, v40, v67 dst_sel:DWORD dst_unused:UNUSED_PAD src0_sel:WORD_1 src1_sel:DWORD
	s_waitcnt lgkmcnt(1)
	v_lshrrev_b32_e32 v68, 16, v54
	s_waitcnt lgkmcnt(0)
	v_lshrrev_b32_e32 v70, 16, v61
	v_fma_f16 v7, v40, v14, v4
	v_mul_f16_sdwa v4, v40, v14 dst_sel:DWORD dst_unused:UNUSED_PAD src0_sel:WORD_1 src1_sel:DWORD
	v_fma_f16 v4, v40, v67, -v4
	v_mul_f16_sdwa v6, v41, v68 dst_sel:DWORD dst_unused:UNUSED_PAD src0_sel:WORD_1 src1_sel:DWORD
	v_mul_f16_sdwa v31, v43, v70 dst_sel:DWORD dst_unused:UNUSED_PAD src0_sel:WORD_1 src1_sel:DWORD
	;; [unrolled: 1-line block ×3, first 2 shown]
	v_lshrrev_b32_e32 v69, 16, v53
	v_fma_f16 v14, v41, v54, v6
	v_mul_f16_sdwa v6, v41, v54 dst_sel:DWORD dst_unused:UNUSED_PAD src0_sel:WORD_1 src1_sel:DWORD
	v_fma_f16 v31, v43, v61, v31
	v_fma_f16 v40, v43, v70, -v40
	v_add_f16_e32 v43, v59, v20
	v_fma_f16 v29, v41, v68, -v6
	v_mul_f16_sdwa v6, v42, v69 dst_sel:DWORD dst_unused:UNUSED_PAD src0_sel:WORD_1 src1_sel:DWORD
	v_fma_f16 v43, v43, -0.5, v9
	v_sub_f16_e32 v52, v58, v23
	v_fma_f16 v2, v30, v65, -v2
	v_fma_f16 v30, v42, v53, v6
	v_mul_f16_sdwa v6, v42, v53 dst_sel:DWORD dst_unused:UNUSED_PAD src0_sel:WORD_1 src1_sel:DWORD
	v_fma_f16 v53, v52, s13, v43
	v_sub_f16_e32 v54, v12, v13
	v_sub_f16_e32 v55, v74, v59
	;; [unrolled: 1-line block ×3, first 2 shown]
	v_fma_f16 v43, v52, s0, v43
	v_fma_f16 v53, v54, s12, v53
	v_add_f16_e32 v55, v55, v56
	v_fma_f16 v43, v54, s1, v43
	v_fma_f16 v6, v42, v69, -v6
	v_add_f16_e32 v42, v9, v74
	v_fma_f16 v53, v55, s7, v53
	v_fma_f16 v43, v55, s7, v43
	v_add_f16_e32 v55, v74, v25
	v_lshrrev_b32_e32 v11, 16, v9
	v_add_f16_e32 v42, v42, v59
	v_fma_f16 v9, v55, -0.5, v9
	v_add_f16_e32 v42, v42, v20
	v_fma_f16 v55, v54, s0, v9
	v_sub_f16_e32 v56, v59, v74
	v_sub_f16_e32 v60, v20, v25
	v_fma_f16 v9, v54, s13, v9
	v_add_f16_e32 v54, v12, v13
	v_add_f16_e32 v42, v42, v25
	v_fma_f16 v55, v52, s12, v55
	v_add_f16_e32 v56, v56, v60
	v_fma_f16 v9, v52, s1, v9
	v_fma_f16 v54, v54, -0.5, v11
	v_sub_f16_e32 v25, v74, v25
	v_fma_f16 v55, v56, s7, v55
	v_fma_f16 v9, v56, s7, v9
	v_fma_f16 v56, v25, s0, v54
	v_sub_f16_e32 v20, v59, v20
	v_sub_f16_e32 v59, v58, v12
	;; [unrolled: 1-line block ×3, first 2 shown]
	v_fma_f16 v54, v25, s13, v54
	v_fma_f16 v56, v20, s1, v56
	v_add_f16_e32 v59, v59, v60
	v_fma_f16 v54, v20, s12, v54
	v_add_f16_e32 v52, v11, v58
	v_fma_f16 v56, v59, s7, v56
	v_fma_f16 v54, v59, s7, v54
	v_add_f16_e32 v59, v58, v23
	v_add_f16_e32 v52, v52, v12
	v_fma_f16 v11, v59, -0.5, v11
	v_add_f16_e32 v52, v52, v13
	v_fma_f16 v59, v20, s13, v11
	v_sub_f16_e32 v12, v12, v58
	v_sub_f16_e32 v13, v13, v23
	v_fma_f16 v11, v20, s0, v11
	v_add_f16_e32 v20, v24, v21
	v_add_f16_e32 v52, v52, v23
	v_fma_f16 v59, v25, s1, v59
	v_add_f16_e32 v12, v12, v13
	v_fma_f16 v20, v20, -0.5, v72
	v_sub_f16_e32 v23, v19, v27
	v_fma_f16 v13, v12, s7, v59
	v_fma_f16 v11, v25, s12, v11
	;; [unrolled: 1-line block ×3, first 2 shown]
	v_sub_f16_e32 v58, v15, v22
	v_sub_f16_e32 v59, v75, v24
	v_sub_f16_e32 v60, v26, v21
	v_fma_f16 v20, v23, s0, v20
	v_fma_f16 v25, v58, s12, v25
	v_add_f16_e32 v59, v59, v60
	v_fma_f16 v20, v58, s1, v20
	v_fma_f16 v11, v12, s7, v11
	v_add_f16_e32 v12, v72, v75
	;; [unrolled: 3-line block ×3, first 2 shown]
	v_add_f16_e32 v12, v12, v24
	v_fma_f16 v59, v59, -0.5, v72
	v_add_f16_e32 v12, v12, v21
	v_fma_f16 v60, v58, s0, v59
	v_sub_f16_e32 v61, v24, v75
	v_sub_f16_e32 v62, v21, v26
	v_fma_f16 v58, v58, s13, v59
	v_add_f16_e32 v59, v15, v22
	v_add_f16_e32 v12, v12, v26
	v_fma_f16 v60, v23, s12, v60
	v_add_f16_e32 v61, v61, v62
	v_fma_f16 v23, v23, s1, v58
	v_fma_f16 v59, v59, -0.5, v57
	v_sub_f16_e32 v26, v75, v26
	v_fma_f16 v60, v61, s7, v60
	v_fma_f16 v23, v61, s7, v23
	v_fma_f16 v61, v26, s0, v59
	v_sub_f16_e32 v21, v24, v21
	v_fma_f16 v24, v21, s1, v61
	v_sub_f16_e32 v61, v19, v15
	v_sub_f16_e32 v62, v27, v22
	v_fma_f16 v59, v26, s13, v59
	v_add_f16_e32 v61, v61, v62
	v_fma_f16 v59, v21, s12, v59
	v_fma_f16 v24, v61, s7, v24
	;; [unrolled: 1-line block ×3, first 2 shown]
	v_add_f16_e32 v61, v19, v27
	v_add_f16_e32 v58, v57, v19
	v_fma_f16 v57, v61, -0.5, v57
	v_add_f16_e32 v58, v58, v15
	v_fma_f16 v61, v21, s13, v57
	v_sub_f16_e32 v15, v15, v19
	v_sub_f16_e32 v19, v22, v27
	v_fma_f16 v21, v21, s0, v57
	v_fma_f16 v61, v26, s1, v61
	v_add_f16_e32 v15, v15, v19
	v_fma_f16 v21, v26, s12, v21
	v_fma_f16 v19, v15, s7, v61
	;; [unrolled: 1-line block ×3, first 2 shown]
	v_mul_f16_e32 v61, 0xbb9c, v15
	v_mul_f16_e32 v63, 0xb8b4, v59
	;; [unrolled: 1-line block ×4, first 2 shown]
	v_add_f16_e32 v58, v58, v22
	v_fma_f16 v63, v20, s2, v63
	v_fma_f16 v15, v23, s0, v15
	;; [unrolled: 1-line block ×3, first 2 shown]
	v_add_f16_e32 v58, v58, v27
	v_mul_f16_e32 v22, 0xb8b4, v24
	v_mul_f16_e32 v27, 0xbb9c, v19
	v_fma_f16 v61, v23, s3, v61
	v_mul_f16_e32 v24, 0x3a79, v24
	v_add_f16_e32 v23, v11, v15
	v_add_f16_e32 v59, v54, v20
	v_sub_f16_e32 v11, v11, v15
	v_sub_f16_e32 v15, v54, v20
	v_add_f16_e32 v20, v17, v14
	v_add_f16_e32 v21, v42, v12
	v_fma_f16 v22, v25, s14, v22
	v_fma_f16 v27, v60, s7, v27
	v_add_f16_e32 v64, v43, v63
	v_add_f16_e32 v65, v52, v58
	v_fma_f16 v24, v25, s1, v24
	v_sub_f16_e32 v12, v42, v12
	v_sub_f16_e32 v42, v43, v63
	v_sub_f16_e32 v43, v52, v58
	v_fma_f16 v20, v20, -0.5, v0
	v_sub_f16_e32 v52, v18, v40
	v_add_f16_e32 v26, v53, v22
	v_add_f16_e32 v57, v55, v27
	;; [unrolled: 1-line block ×3, first 2 shown]
	v_sub_f16_e32 v22, v53, v22
	v_sub_f16_e32 v27, v55, v27
	;; [unrolled: 1-line block ×3, first 2 shown]
	v_fma_f16 v53, v52, s13, v20
	v_sub_f16_e32 v54, v16, v29
	v_sub_f16_e32 v55, v28, v17
	v_sub_f16_e32 v56, v31, v14
	v_fma_f16 v20, v52, s0, v20
	v_mul_f16_e32 v19, 0x34f2, v19
	v_fma_f16 v53, v54, s12, v53
	v_add_f16_e32 v55, v55, v56
	v_fma_f16 v20, v54, s1, v20
	v_fma_f16 v19, v60, s0, v19
	v_fma_f16 v53, v55, s7, v53
	v_fma_f16 v20, v55, s7, v20
	v_add_f16_e32 v55, v28, v31
	v_lshrrev_b32_e32 v3, 16, v0
	v_add_f16_e32 v60, v13, v19
	v_sub_f16_e32 v13, v13, v19
	v_add_f16_e32 v19, v0, v28
	v_fma_f16 v0, v55, -0.5, v0
	v_add_f16_e32 v19, v19, v17
	v_fma_f16 v55, v54, s0, v0
	v_fma_f16 v0, v54, s13, v0
	v_add_f16_e32 v54, v16, v29
	v_add_f16_e32 v19, v19, v14
	v_sub_f16_e32 v56, v17, v28
	v_sub_f16_e32 v58, v14, v31
	v_fma_f16 v54, v54, -0.5, v3
	v_sub_f16_e32 v28, v28, v31
	v_add_f16_e32 v19, v19, v31
	v_fma_f16 v55, v52, s12, v55
	v_add_f16_e32 v56, v56, v58
	v_fma_f16 v0, v52, s1, v0
	v_fma_f16 v31, v28, s0, v54
	v_sub_f16_e32 v14, v17, v14
	v_fma_f16 v55, v56, s7, v55
	v_fma_f16 v0, v56, s7, v0
	;; [unrolled: 1-line block ×3, first 2 shown]
	v_sub_f16_e32 v31, v18, v16
	v_sub_f16_e32 v56, v40, v29
	v_fma_f16 v54, v28, s13, v54
	v_add_f16_e32 v31, v31, v56
	v_fma_f16 v54, v14, s12, v54
	v_fma_f16 v17, v31, s7, v17
	;; [unrolled: 1-line block ×3, first 2 shown]
	v_add_f16_e32 v54, v18, v40
	v_lshrrev_b32_e32 v71, 16, v10
	v_add_f16_e32 v52, v3, v18
	v_fma_f16 v3, v54, -0.5, v3
	v_mul_f16_sdwa v41, v105, v71 dst_sel:DWORD dst_unused:UNUSED_PAD src0_sel:WORD_1 src1_sel:DWORD
	v_add_f16_e32 v52, v52, v16
	v_fma_f16 v54, v14, s13, v3
	v_sub_f16_e32 v16, v16, v18
	v_sub_f16_e32 v18, v29, v40
	v_fma_f16 v3, v14, s0, v3
	v_fma_f16 v41, v105, v10, v41
	v_mul_f16_sdwa v10, v105, v10 dst_sel:DWORD dst_unused:UNUSED_PAD src0_sel:WORD_1 src1_sel:DWORD
	v_fma_f16 v54, v28, s1, v54
	v_add_f16_e32 v16, v16, v18
	v_fma_f16 v3, v28, s12, v3
	v_fma_f16 v10, v105, v71, -v10
	v_fma_f16 v18, v16, s7, v54
	v_fma_f16 v3, v16, s7, v3
	v_add_f16_e32 v16, v7, v30
	v_add_f16_e32 v52, v52, v29
	v_fma_f16 v16, v16, -0.5, v8
	v_sub_f16_e32 v28, v2, v10
	v_add_f16_e32 v52, v52, v40
	v_fma_f16 v29, v28, s13, v16
	v_sub_f16_e32 v40, v4, v6
	v_sub_f16_e32 v54, v5, v7
	v_sub_f16_e32 v56, v41, v30
	v_fma_f16 v16, v28, s0, v16
	v_fma_f16 v29, v40, s12, v29
	v_add_f16_e32 v54, v54, v56
	v_fma_f16 v16, v40, s1, v16
	v_fma_f16 v29, v54, s7, v29
	;; [unrolled: 1-line block ×3, first 2 shown]
	v_add_f16_e32 v54, v5, v41
	v_add_f16_e32 v14, v8, v5
	v_fma_f16 v8, v54, -0.5, v8
	v_add_f16_e32 v14, v14, v7
	v_fma_f16 v54, v40, s0, v8
	v_fma_f16 v8, v40, s13, v8
	v_add_f16_e32 v40, v4, v6
	v_add_f16_e32 v14, v14, v30
	v_sub_f16_e32 v56, v7, v5
	v_sub_f16_e32 v58, v30, v41
	v_fma_f16 v40, v40, -0.5, v1
	v_sub_f16_e32 v5, v5, v41
	v_add_f16_e32 v14, v14, v41
	v_fma_f16 v54, v28, s12, v54
	v_add_f16_e32 v56, v56, v58
	v_fma_f16 v8, v28, s1, v8
	v_fma_f16 v41, v5, s0, v40
	v_sub_f16_e32 v7, v7, v30
	v_fma_f16 v54, v56, s7, v54
	v_fma_f16 v8, v56, s7, v8
	;; [unrolled: 1-line block ×3, first 2 shown]
	v_sub_f16_e32 v41, v2, v4
	v_sub_f16_e32 v56, v10, v6
	v_fma_f16 v40, v5, s13, v40
	v_add_f16_e32 v41, v41, v56
	v_fma_f16 v40, v7, s12, v40
	v_fma_f16 v30, v41, s7, v30
	;; [unrolled: 1-line block ×3, first 2 shown]
	v_add_f16_e32 v41, v2, v10
	v_add_f16_e32 v28, v1, v2
	v_fma_f16 v1, v41, -0.5, v1
	v_add_f16_e32 v28, v28, v4
	v_fma_f16 v41, v7, s13, v1
	v_sub_f16_e32 v2, v4, v2
	v_sub_f16_e32 v4, v6, v10
	v_fma_f16 v1, v7, s0, v1
	v_fma_f16 v41, v5, s1, v41
	v_add_f16_e32 v2, v2, v4
	v_fma_f16 v1, v5, s12, v1
	v_fma_f16 v4, v2, s7, v41
	v_fma_f16 v1, v2, s7, v1
	v_mul_f16_e32 v7, 0xbb9c, v4
	v_mul_f16_e32 v41, 0xbb9c, v1
	;; [unrolled: 1-line block ×6, first 2 shown]
	v_fma_f16 v58, v16, s2, v58
	v_fma_f16 v4, v54, s0, v4
	;; [unrolled: 1-line block ×4, first 2 shown]
	v_add_f16_e32 v62, v9, v61
	v_add_f16_e32 v28, v28, v6
	v_mul_f16_e32 v5, 0xb8b4, v30
	v_fma_f16 v7, v54, s7, v7
	v_fma_f16 v41, v8, s3, v41
	v_mul_f16_e32 v30, 0x3a79, v30
	v_add_f16_e32 v54, v18, v4
	v_add_f16_e32 v8, v3, v1
	;; [unrolled: 1-line block ×3, first 2 shown]
	v_sub_f16_e32 v4, v18, v4
	v_sub_f16_e32 v1, v3, v1
	;; [unrolled: 1-line block ×3, first 2 shown]
	v_pack_b32_f16 v16, v21, v65
	v_pack_b32_f16 v18, v26, v25
	v_add_f16_e32 v28, v28, v10
	v_fma_f16 v5, v29, s14, v5
	v_fma_f16 v29, v29, s1, v30
	s_barrier
	ds_write2_b32 v89, v16, v18 offset1:100
	v_pack_b32_f16 v16, v57, v60
	v_pack_b32_f16 v18, v62, v23
	v_sub_f16_e32 v9, v9, v61
	v_add_f16_e32 v2, v19, v14
	v_add_f16_e32 v6, v53, v5
	;; [unrolled: 1-line block ×4, first 2 shown]
	ds_write2_b32 v96, v16, v18 offset0:72 offset1:172
	v_pack_b32_f16 v16, v64, v59
	v_pack_b32_f16 v12, v12, v43
	v_add_f16_e32 v10, v55, v7
	v_add_f16_e32 v56, v0, v41
	ds_write2_b32 v97, v16, v12 offset0:144 offset1:244
	v_pack_b32_f16 v12, v22, v24
	v_pack_b32_f16 v13, v27, v13
	;; [unrolled: 1-line block ×6, first 2 shown]
	v_add_f16_e32 v61, v20, v58
	v_sub_f16_e32 v14, v19, v14
	v_sub_f16_e32 v19, v20, v58
	;; [unrolled: 1-line block ×3, first 2 shown]
	ds_write2_b32 v98, v12, v13 offset0:88 offset1:188
	ds_write2_b32 v100, v9, v11 offset0:32 offset1:132
	ds_write2_b32 v99, v2, v6 offset1:100
	v_pack_b32_f16 v2, v10, v54
	v_pack_b32_f16 v6, v56, v8
	v_sub_f16_e32 v5, v53, v5
	v_sub_f16_e32 v7, v55, v7
	;; [unrolled: 1-line block ×4, first 2 shown]
	ds_write2_b32 v101, v2, v6 offset0:72 offset1:172
	v_pack_b32_f16 v2, v61, v40
	v_pack_b32_f16 v6, v14, v20
	ds_write2_b32 v102, v2, v6 offset0:144 offset1:244
	v_pack_b32_f16 v2, v5, v17
	v_pack_b32_f16 v4, v7, v4
	v_pack_b32_f16 v0, v0, v1
	v_pack_b32_f16 v1, v19, v3
	ds_write2_b32 v103, v2, v4 offset0:88 offset1:188
	ds_write2_b32 v104, v0, v1 offset0:32 offset1:132
	s_waitcnt lgkmcnt(0)
	s_barrier
	ds_read_b32 v9, v73
	ds_read_b32 v1, v73 offset:4000
	ds_read_b32 v2, v73 offset:36000
	;; [unrolled: 1-line block ×6, first 2 shown]
	s_waitcnt lgkmcnt(5)
	v_lshrrev_b32_e32 v6, 16, v1
	v_mul_f16_sdwa v56, v32, v6 dst_sel:DWORD dst_unused:UNUSED_PAD src0_sel:WORD_1 src1_sel:DWORD
	s_waitcnt lgkmcnt(3)
	v_lshrrev_b32_e32 v7, 16, v4
	v_fma_f16 v56, v32, v1, v56
	v_mul_f16_sdwa v1, v32, v1 dst_sel:DWORD dst_unused:UNUSED_PAD src0_sel:WORD_1 src1_sel:DWORD
	v_fma_f16 v32, v32, v6, -v1
	v_mul_f16_sdwa v1, v33, v7 dst_sel:DWORD dst_unused:UNUSED_PAD src0_sel:WORD_1 src1_sel:DWORD
	ds_read_b32 v8, v73 offset:12000
	ds_read_b32 v12, v73 offset:16000
	;; [unrolled: 1-line block ×8, first 2 shown]
	s_waitcnt lgkmcnt(7)
	v_lshrrev_b32_e32 v19, 16, v8
	v_fma_f16 v57, v33, v4, v1
	v_mul_f16_sdwa v1, v33, v4 dst_sel:DWORD dst_unused:UNUSED_PAD src0_sel:WORD_1 src1_sel:DWORD
	v_fma_f16 v33, v33, v7, -v1
	v_mul_f16_sdwa v1, v34, v19 dst_sel:DWORD dst_unused:UNUSED_PAD src0_sel:WORD_1 src1_sel:DWORD
	s_waitcnt lgkmcnt(6)
	v_lshrrev_b32_e32 v20, 16, v12
	v_fma_f16 v58, v34, v8, v1
	v_mul_f16_sdwa v1, v34, v8 dst_sel:DWORD dst_unused:UNUSED_PAD src0_sel:WORD_1 src1_sel:DWORD
	v_fma_f16 v19, v34, v19, -v1
	v_mul_f16_sdwa v1, v35, v20 dst_sel:DWORD dst_unused:UNUSED_PAD src0_sel:WORD_1 src1_sel:DWORD
	s_waitcnt lgkmcnt(3)
	v_lshrrev_b32_e32 v21, 16, v15
	ds_read_b32 v22, v73 offset:28000
	ds_read_b32 v23, v73 offset:32000
	v_fma_f16 v34, v35, v12, v1
	v_mul_f16_sdwa v1, v35, v12 dst_sel:DWORD dst_unused:UNUSED_PAD src0_sel:WORD_1 src1_sel:DWORD
	v_fma_f16 v12, v35, v20, -v1
	v_mul_f16_sdwa v1, v36, v21 dst_sel:DWORD dst_unused:UNUSED_PAD src0_sel:WORD_1 src1_sel:DWORD
	v_lshrrev_b32_e32 v24, 16, v13
	v_fma_f16 v20, v36, v15, v1
	v_mul_f16_sdwa v1, v36, v15 dst_sel:DWORD dst_unused:UNUSED_PAD src0_sel:WORD_1 src1_sel:DWORD
	v_fma_f16 v15, v36, v21, -v1
	v_mul_f16_sdwa v1, v37, v24 dst_sel:DWORD dst_unused:UNUSED_PAD src0_sel:WORD_1 src1_sel:DWORD
	s_waitcnt lgkmcnt(1)
	v_lshrrev_b32_e32 v27, 16, v22
	v_fma_f16 v21, v37, v13, v1
	v_mul_f16_sdwa v1, v37, v13 dst_sel:DWORD dst_unused:UNUSED_PAD src0_sel:WORD_1 src1_sel:DWORD
	v_fma_f16 v13, v37, v24, -v1
	v_mul_f16_sdwa v1, v38, v27 dst_sel:DWORD dst_unused:UNUSED_PAD src0_sel:WORD_1 src1_sel:DWORD
	s_waitcnt lgkmcnt(0)
	v_lshrrev_b32_e32 v28, 16, v23
	v_fma_f16 v24, v38, v22, v1
	v_mul_f16_sdwa v1, v38, v22 dst_sel:DWORD dst_unused:UNUSED_PAD src0_sel:WORD_1 src1_sel:DWORD
	v_fma_f16 v22, v38, v27, -v1
	v_mul_f16_sdwa v1, v39, v28 dst_sel:DWORD dst_unused:UNUSED_PAD src0_sel:WORD_1 src1_sel:DWORD
	v_lshrrev_b32_e32 v30, 16, v2
	v_fma_f16 v27, v39, v23, v1
	v_mul_f16_sdwa v1, v39, v23 dst_sel:DWORD dst_unused:UNUSED_PAD src0_sel:WORD_1 src1_sel:DWORD
	v_fma_f16 v23, v39, v28, -v1
	v_mul_f16_sdwa v1, v106, v30 dst_sel:DWORD dst_unused:UNUSED_PAD src0_sel:WORD_1 src1_sel:DWORD
	v_lshrrev_b32_e32 v31, 16, v5
	v_fma_f16 v28, v106, v2, v1
	v_mul_f16_sdwa v1, v106, v2 dst_sel:DWORD dst_unused:UNUSED_PAD src0_sel:WORD_1 src1_sel:DWORD
	v_lshrrev_b32_e32 v40, 16, v18
	v_fma_f16 v30, v106, v30, -v1
	v_mul_f16_sdwa v1, v44, v31 dst_sel:DWORD dst_unused:UNUSED_PAD src0_sel:WORD_1 src1_sel:DWORD
	v_fma_f16 v8, v44, v5, v1
	v_mul_f16_sdwa v1, v44, v5 dst_sel:DWORD dst_unused:UNUSED_PAD src0_sel:WORD_1 src1_sel:DWORD
	v_mul_f16_sdwa v2, v45, v40 dst_sel:DWORD dst_unused:UNUSED_PAD src0_sel:WORD_1 src1_sel:DWORD
	v_lshrrev_b32_e32 v41, 16, v17
	v_lshrrev_b32_e32 v42, 16, v16
	v_fma_f16 v1, v44, v31, -v1
	v_fma_f16 v31, v45, v18, v2
	v_mul_f16_sdwa v2, v45, v18 dst_sel:DWORD dst_unused:UNUSED_PAD src0_sel:WORD_1 src1_sel:DWORD
	v_fma_f16 v18, v45, v40, -v2
	v_mul_f16_sdwa v2, v46, v41 dst_sel:DWORD dst_unused:UNUSED_PAD src0_sel:WORD_1 src1_sel:DWORD
	v_mul_f16_sdwa v4, v47, v42 dst_sel:DWORD dst_unused:UNUSED_PAD src0_sel:WORD_1 src1_sel:DWORD
	v_lshrrev_b32_e32 v43, 16, v14
	v_fma_f16 v5, v46, v17, v2
	v_mul_f16_sdwa v2, v46, v17 dst_sel:DWORD dst_unused:UNUSED_PAD src0_sel:WORD_1 src1_sel:DWORD
	v_fma_f16 v17, v47, v16, v4
	v_mul_f16_sdwa v4, v47, v16 dst_sel:DWORD dst_unused:UNUSED_PAD src0_sel:WORD_1 src1_sel:DWORD
	v_fma_f16 v16, v47, v42, -v4
	v_mul_f16_sdwa v4, v48, v43 dst_sel:DWORD dst_unused:UNUSED_PAD src0_sel:WORD_1 src1_sel:DWORD
	v_add_f16_e32 v38, v34, v21
	v_fma_f16 v7, v48, v14, v4
	v_mul_f16_sdwa v4, v48, v14 dst_sel:DWORD dst_unused:UNUSED_PAD src0_sel:WORD_1 src1_sel:DWORD
	v_fma_f16 v38, v38, -0.5, v9
	v_sub_f16_e32 v39, v33, v23
	v_fma_f16 v2, v46, v41, -v2
	v_fma_f16 v4, v48, v43, -v4
	v_fma_f16 v40, v39, s13, v38
	v_sub_f16_e32 v41, v12, v13
	v_sub_f16_e32 v42, v57, v34
	;; [unrolled: 1-line block ×3, first 2 shown]
	v_fma_f16 v38, v39, s0, v38
	v_fma_f16 v40, v41, s12, v40
	v_add_f16_e32 v42, v42, v43
	v_fma_f16 v38, v41, s1, v38
	v_add_f16_e32 v37, v9, v57
	v_fma_f16 v40, v42, s7, v40
	v_fma_f16 v38, v42, s7, v38
	v_add_f16_e32 v42, v57, v27
	v_lshrrev_b32_e32 v11, 16, v9
	v_add_f16_e32 v37, v37, v34
	v_fma_f16 v9, v42, -0.5, v9
	v_add_f16_e32 v37, v37, v21
	v_fma_f16 v42, v41, s0, v9
	v_sub_f16_e32 v43, v34, v57
	v_sub_f16_e32 v44, v21, v27
	v_fma_f16 v9, v41, s13, v9
	v_add_f16_e32 v41, v12, v13
	v_add_f16_e32 v37, v37, v27
	v_fma_f16 v42, v39, s12, v42
	v_add_f16_e32 v43, v43, v44
	v_fma_f16 v9, v39, s1, v9
	v_fma_f16 v41, v41, -0.5, v11
	v_sub_f16_e32 v27, v57, v27
	v_fma_f16 v42, v43, s7, v42
	v_fma_f16 v9, v43, s7, v9
	;; [unrolled: 1-line block ×3, first 2 shown]
	v_sub_f16_e32 v21, v34, v21
	v_fma_f16 v34, v21, s1, v43
	v_sub_f16_e32 v43, v33, v12
	v_sub_f16_e32 v44, v23, v13
	v_fma_f16 v41, v27, s13, v41
	v_add_f16_e32 v43, v43, v44
	v_fma_f16 v41, v21, s12, v41
	v_add_f16_e32 v39, v11, v33
	v_fma_f16 v34, v43, s7, v34
	v_fma_f16 v41, v43, s7, v41
	v_add_f16_e32 v43, v33, v23
	v_add_f16_e32 v39, v39, v12
	v_fma_f16 v11, v43, -0.5, v11
	v_add_f16_e32 v39, v39, v13
	v_fma_f16 v43, v21, s13, v11
	v_sub_f16_e32 v12, v12, v33
	v_sub_f16_e32 v13, v13, v23
	v_fma_f16 v11, v21, s0, v11
	v_add_f16_e32 v21, v20, v24
	v_add_f16_e32 v39, v39, v23
	v_fma_f16 v43, v27, s1, v43
	v_add_f16_e32 v12, v12, v13
	v_fma_f16 v21, v21, -0.5, v56
	v_sub_f16_e32 v23, v19, v30
	v_fma_f16 v13, v12, s7, v43
	v_fma_f16 v11, v27, s12, v11
	v_fma_f16 v27, v23, s13, v21
	v_sub_f16_e32 v33, v15, v22
	v_sub_f16_e32 v43, v58, v20
	;; [unrolled: 1-line block ×3, first 2 shown]
	v_fma_f16 v21, v23, s0, v21
	v_fma_f16 v27, v33, s12, v27
	v_add_f16_e32 v43, v43, v44
	v_fma_f16 v21, v33, s1, v21
	v_fma_f16 v11, v12, s7, v11
	v_add_f16_e32 v12, v56, v58
	v_fma_f16 v27, v43, s7, v27
	v_fma_f16 v21, v43, s7, v21
	v_add_f16_e32 v43, v58, v28
	v_add_f16_e32 v12, v12, v20
	v_fma_f16 v43, v43, -0.5, v56
	v_add_f16_e32 v12, v12, v24
	v_fma_f16 v44, v33, s0, v43
	v_sub_f16_e32 v45, v20, v58
	v_sub_f16_e32 v46, v24, v28
	v_fma_f16 v33, v33, s13, v43
	v_add_f16_e32 v43, v15, v22
	ds_read_b32 v25, v73 offset:30000
	ds_read_b32 v26, v73 offset:26000
	v_add_f16_e32 v12, v12, v28
	v_fma_f16 v44, v23, s12, v44
	v_add_f16_e32 v45, v45, v46
	v_fma_f16 v23, v23, s1, v33
	v_fma_f16 v43, v43, -0.5, v32
	v_sub_f16_e32 v28, v58, v28
	v_fma_f16 v44, v45, s7, v44
	v_fma_f16 v23, v45, s7, v23
	v_fma_f16 v45, v28, s0, v43
	v_sub_f16_e32 v20, v20, v24
	v_fma_f16 v24, v20, s1, v45
	v_sub_f16_e32 v45, v19, v15
	v_sub_f16_e32 v46, v30, v22
	v_fma_f16 v43, v28, s13, v43
	ds_read_b32 v29, v73 offset:34000
	v_add_f16_e32 v45, v45, v46
	v_fma_f16 v43, v20, s12, v43
	v_fma_f16 v24, v45, s7, v24
	v_fma_f16 v43, v45, s7, v43
	v_add_f16_e32 v45, v19, v30
	s_waitcnt lgkmcnt(1)
	v_lshrrev_b32_e32 v52, 16, v26
	v_add_f16_e32 v33, v32, v19
	v_fma_f16 v32, v45, -0.5, v32
	v_mul_f16_sdwa v6, v49, v52 dst_sel:DWORD dst_unused:UNUSED_PAD src0_sel:WORD_1 src1_sel:DWORD
	v_add_f16_e32 v33, v33, v15
	v_fma_f16 v45, v20, s13, v32
	v_sub_f16_e32 v15, v15, v19
	v_sub_f16_e32 v19, v22, v30
	v_fma_f16 v20, v20, s0, v32
	v_lshrrev_b32_e32 v53, 16, v25
	v_fma_f16 v14, v49, v26, v6
	v_mul_f16_sdwa v6, v49, v26 dst_sel:DWORD dst_unused:UNUSED_PAD src0_sel:WORD_1 src1_sel:DWORD
	v_fma_f16 v45, v28, s1, v45
	v_add_f16_e32 v15, v15, v19
	v_fma_f16 v20, v28, s12, v20
	s_waitcnt lgkmcnt(0)
	v_lshrrev_b32_e32 v54, 16, v29
	v_fma_f16 v26, v49, v52, -v6
	v_mul_f16_sdwa v6, v50, v53 dst_sel:DWORD dst_unused:UNUSED_PAD src0_sel:WORD_1 src1_sel:DWORD
	v_fma_f16 v19, v15, s7, v45
	v_fma_f16 v15, v15, s7, v20
	;; [unrolled: 1-line block ×3, first 2 shown]
	v_mul_f16_sdwa v6, v50, v25 dst_sel:DWORD dst_unused:UNUSED_PAD src0_sel:WORD_1 src1_sel:DWORD
	v_mul_f16_sdwa v25, v51, v54 dst_sel:DWORD dst_unused:UNUSED_PAD src0_sel:WORD_1 src1_sel:DWORD
	v_mul_f16_e32 v45, 0xbb9c, v15
	v_mul_f16_e32 v47, 0xb8b4, v43
	;; [unrolled: 1-line block ×4, first 2 shown]
	v_fma_f16 v25, v51, v29, v25
	v_mul_f16_sdwa v29, v51, v29 dst_sel:DWORD dst_unused:UNUSED_PAD src0_sel:WORD_1 src1_sel:DWORD
	v_add_f16_e32 v33, v33, v22
	v_mul_f16_e32 v22, 0xb8b4, v24
	v_fma_f16 v47, v21, s2, v47
	v_mul_f16_e32 v24, 0x3a79, v24
	v_fma_f16 v15, v23, s0, v15
	v_fma_f16 v21, v21, s1, v43
	v_fma_f16 v29, v51, v54, -v29
	v_fma_f16 v45, v23, s3, v45
	v_fma_f16 v24, v27, s1, v24
	v_add_f16_e32 v23, v11, v15
	v_add_f16_e32 v43, v41, v21
	v_sub_f16_e32 v11, v11, v15
	v_sub_f16_e32 v15, v41, v21
	v_add_f16_e32 v21, v17, v14
	v_add_f16_e32 v33, v33, v30
	v_fma_f16 v22, v27, s14, v22
	v_add_f16_e32 v27, v34, v24
	v_sub_f16_e32 v24, v34, v24
	v_fma_f16 v21, v21, -0.5, v0
	v_sub_f16_e32 v34, v18, v29
	v_add_f16_e32 v20, v37, v12
	v_add_f16_e32 v28, v40, v22
	v_mul_f16_e32 v30, 0xbb9c, v19
	v_add_f16_e32 v48, v38, v47
	v_add_f16_e32 v49, v39, v33
	v_mul_f16_e32 v19, 0x34f2, v19
	v_sub_f16_e32 v12, v37, v12
	v_sub_f16_e32 v22, v40, v22
	;; [unrolled: 1-line block ×4, first 2 shown]
	v_fma_f16 v38, v34, s13, v21
	v_sub_f16_e32 v39, v16, v26
	v_sub_f16_e32 v40, v31, v17
	;; [unrolled: 1-line block ×3, first 2 shown]
	v_fma_f16 v21, v34, s0, v21
	v_fma_f16 v19, v44, s0, v19
	;; [unrolled: 1-line block ×3, first 2 shown]
	v_add_f16_e32 v40, v40, v41
	v_fma_f16 v21, v39, s1, v21
	v_fma_f16 v30, v44, s7, v30
	v_add_f16_e32 v44, v13, v19
	v_sub_f16_e32 v13, v13, v19
	v_add_f16_e32 v19, v0, v31
	v_fma_f16 v38, v40, s7, v38
	v_fma_f16 v21, v40, s7, v21
	v_add_f16_e32 v40, v31, v25
	v_lshrrev_b32_e32 v3, 16, v0
	v_add_f16_e32 v19, v19, v17
	v_fma_f16 v0, v40, -0.5, v0
	v_add_f16_e32 v19, v19, v14
	v_fma_f16 v40, v39, s0, v0
	v_fma_f16 v0, v39, s13, v0
	v_add_f16_e32 v39, v16, v26
	v_add_f16_e32 v32, v42, v30
	v_sub_f16_e32 v30, v42, v30
	v_add_f16_e32 v19, v19, v25
	v_sub_f16_e32 v41, v17, v31
	v_sub_f16_e32 v42, v14, v25
	v_fma_f16 v39, v39, -0.5, v3
	v_sub_f16_e32 v25, v31, v25
	v_fma_f16 v40, v34, s12, v40
	v_add_f16_e32 v41, v41, v42
	v_fma_f16 v0, v34, s1, v0
	v_fma_f16 v31, v25, s0, v39
	v_sub_f16_e32 v14, v17, v14
	v_fma_f16 v40, v41, s7, v40
	v_fma_f16 v0, v41, s7, v0
	;; [unrolled: 1-line block ×3, first 2 shown]
	v_sub_f16_e32 v31, v18, v16
	v_sub_f16_e32 v41, v29, v26
	v_fma_f16 v39, v25, s13, v39
	v_add_f16_e32 v31, v31, v41
	v_fma_f16 v39, v14, s12, v39
	v_fma_f16 v17, v31, s7, v17
	;; [unrolled: 1-line block ×3, first 2 shown]
	v_add_f16_e32 v39, v18, v29
	v_lshrrev_b32_e32 v55, 16, v10
	v_add_f16_e32 v34, v3, v18
	v_fma_f16 v3, v39, -0.5, v3
	v_mul_f16_sdwa v36, v107, v55 dst_sel:DWORD dst_unused:UNUSED_PAD src0_sel:WORD_1 src1_sel:DWORD
	v_add_f16_e32 v34, v34, v16
	v_fma_f16 v39, v14, s13, v3
	v_sub_f16_e32 v16, v16, v18
	v_sub_f16_e32 v18, v26, v29
	v_fma_f16 v3, v14, s0, v3
	v_fma_f16 v36, v107, v10, v36
	v_mul_f16_sdwa v10, v107, v10 dst_sel:DWORD dst_unused:UNUSED_PAD src0_sel:WORD_1 src1_sel:DWORD
	v_fma_f16 v39, v25, s1, v39
	v_add_f16_e32 v16, v16, v18
	v_fma_f16 v3, v25, s12, v3
	v_fma_f16 v10, v107, v55, -v10
	v_fma_f16 v18, v16, s7, v39
	v_fma_f16 v3, v16, s7, v3
	v_add_f16_e32 v16, v7, v35
	v_fma_f16 v6, v50, v53, -v6
	v_add_f16_e32 v34, v34, v26
	v_fma_f16 v16, v16, -0.5, v8
	v_sub_f16_e32 v25, v2, v10
	v_add_f16_e32 v34, v34, v29
	v_fma_f16 v26, v25, s13, v16
	v_sub_f16_e32 v29, v4, v6
	v_sub_f16_e32 v39, v5, v7
	;; [unrolled: 1-line block ×3, first 2 shown]
	v_fma_f16 v16, v25, s0, v16
	v_fma_f16 v26, v29, s12, v26
	v_add_f16_e32 v39, v39, v41
	v_fma_f16 v16, v29, s1, v16
	v_fma_f16 v26, v39, s7, v26
	;; [unrolled: 1-line block ×3, first 2 shown]
	v_add_f16_e32 v39, v5, v36
	v_add_f16_e32 v14, v8, v5
	v_fma_f16 v8, v39, -0.5, v8
	v_add_f16_e32 v14, v14, v7
	v_fma_f16 v39, v29, s0, v8
	v_fma_f16 v8, v29, s13, v8
	v_add_f16_e32 v29, v4, v6
	v_add_f16_e32 v14, v14, v35
	v_sub_f16_e32 v41, v7, v5
	v_sub_f16_e32 v42, v35, v36
	v_fma_f16 v29, v29, -0.5, v1
	v_sub_f16_e32 v5, v5, v36
	v_add_f16_e32 v14, v14, v36
	v_fma_f16 v39, v25, s12, v39
	v_add_f16_e32 v41, v41, v42
	v_fma_f16 v8, v25, s1, v8
	v_fma_f16 v36, v5, s0, v29
	v_sub_f16_e32 v7, v7, v35
	v_fma_f16 v39, v41, s7, v39
	v_fma_f16 v8, v41, s7, v8
	;; [unrolled: 1-line block ×3, first 2 shown]
	v_sub_f16_e32 v36, v2, v4
	v_sub_f16_e32 v41, v10, v6
	v_fma_f16 v29, v5, s13, v29
	v_add_f16_e32 v36, v36, v41
	v_fma_f16 v29, v7, s12, v29
	v_fma_f16 v35, v36, s7, v35
	;; [unrolled: 1-line block ×3, first 2 shown]
	v_add_f16_e32 v36, v2, v10
	v_add_f16_e32 v25, v1, v2
	v_fma_f16 v1, v36, -0.5, v1
	v_add_f16_e32 v25, v25, v4
	v_fma_f16 v36, v7, s13, v1
	v_sub_f16_e32 v2, v4, v2
	v_sub_f16_e32 v4, v6, v10
	v_add_f16_e32 v25, v25, v6
	v_fma_f16 v36, v5, s1, v36
	v_add_f16_e32 v2, v2, v4
	v_fma_f16 v1, v7, s0, v1
	;; [unrolled: 2-line block ×3, first 2 shown]
	v_fma_f16 v1, v5, s12, v1
	v_mul_f16_e32 v5, 0xb8b4, v35
	v_mul_f16_e32 v35, 0x3a79, v35
	v_fma_f16 v1, v2, s7, v1
	v_add_f16_e32 v2, v19, v14
	v_fma_f16 v5, v26, s14, v5
	v_mul_f16_e32 v7, 0xbb9c, v4
	v_add_f16_e32 v47, v34, v25
	v_fma_f16 v26, v26, s1, v35
	v_mul_f16_e32 v4, 0x34f2, v4
	v_add_f16_e32 v6, v38, v5
	v_fma_f16 v7, v39, s7, v7
	v_mul_f16_e32 v36, 0xbb9c, v1
	v_add_f16_e32 v35, v17, v26
	v_fma_f16 v4, v39, s0, v4
	v_mul_f16_e32 v1, 0xb4f2, v1
	v_pack_b32_f16 v2, v2, v47
	v_add_f16_e32 v10, v40, v7
	v_fma_f16 v36, v8, s3, v36
	v_mul_f16_e32 v42, 0xb8b4, v29
	v_add_f16_e32 v39, v18, v4
	v_fma_f16 v1, v8, s0, v1
	v_mul_f16_e32 v29, 0xba79, v29
	ds_write_b32 v73, v2 offset:2000
	v_pack_b32_f16 v2, v6, v35
	v_add_f16_e32 v41, v0, v36
	v_fma_f16 v42, v16, s2, v42
	v_add_f16_e32 v8, v3, v1
	v_fma_f16 v16, v16, s1, v29
	ds_write_b32 v73, v2 offset:6000
	v_pack_b32_f16 v2, v10, v39
	v_add_f16_e32 v46, v9, v45
	v_sub_f16_e32 v9, v9, v45
	v_add_f16_e32 v45, v21, v42
	v_add_f16_e32 v29, v31, v16
	v_sub_f16_e32 v1, v3, v1
	v_sub_f16_e32 v3, v31, v16
	v_pack_b32_f16 v16, v20, v49
	ds_write_b32 v73, v2 offset:10000
	v_pack_b32_f16 v2, v41, v8
	v_sub_f16_e32 v14, v19, v14
	v_sub_f16_e32 v19, v21, v42
	;; [unrolled: 1-line block ×3, first 2 shown]
	ds_write_b32 v73, v16
	v_pack_b32_f16 v16, v28, v27
	ds_write_b32 v73, v2 offset:14000
	v_pack_b32_f16 v2, v45, v29
	v_sub_f16_e32 v5, v38, v5
	v_sub_f16_e32 v0, v0, v36
	;; [unrolled: 1-line block ×3, first 2 shown]
	ds_write_b32 v73, v16 offset:4000
	v_pack_b32_f16 v16, v32, v44
	v_pack_b32_f16 v12, v12, v33
	ds_write_b32 v73, v2 offset:18000
	v_pack_b32_f16 v2, v14, v21
	v_sub_f16_e32 v7, v40, v7
	v_sub_f16_e32 v4, v18, v4
	ds_write_b32 v73, v16 offset:8000
	v_pack_b32_f16 v16, v46, v23
	ds_write_b32 v73, v12 offset:20000
	v_pack_b32_f16 v12, v22, v24
	v_pack_b32_f16 v9, v9, v11
	ds_write_b32 v73, v2 offset:22000
	v_pack_b32_f16 v2, v5, v17
	v_pack_b32_f16 v0, v0, v1
	ds_write_b32 v73, v16 offset:12000
	v_pack_b32_f16 v16, v48, v43
	ds_write_b32 v73, v12 offset:24000
	v_pack_b32_f16 v12, v30, v13
	ds_write_b32 v73, v9 offset:32000
	v_pack_b32_f16 v9, v37, v15
	;; [unrolled: 2-line block ×4, first 2 shown]
	ds_write_b32 v73, v16 offset:16000
	ds_write_b32 v73, v12 offset:28000
	;; [unrolled: 1-line block ×5, first 2 shown]
	s_waitcnt lgkmcnt(0)
	s_barrier
	ds_read_b32 v0, v73
	ds_read_b32 v1, v73 offset:2000
	ds_read_b32 v2, v73 offset:4000
	;; [unrolled: 1-line block ×5, first 2 shown]
	buffer_load_dword v10, off, s[20:23], 0 offset:60 ; 4-byte Folded Reload
	buffer_load_dword v11, off, s[20:23], 0 offset:64 ; 4-byte Folded Reload
	s_waitcnt lgkmcnt(5)
	v_lshrrev_b32_e32 v9, 16, v0
	v_mul_f16_sdwa v6, v78, v9 dst_sel:DWORD dst_unused:UNUSED_PAD src0_sel:WORD_1 src1_sel:DWORD
	v_fma_f16 v6, v78, v0, v6
	v_cvt_f32_f16_e32 v6, v6
	s_mov_b32 s2, 0xeb1c432d
	s_mov_b32 s3, 0x3f1a36e2
	s_movk_i32 s7, 0x1ff
	v_cvt_f64_f32_e32 v[6:7], v6
	v_mul_f16_sdwa v0, v78, v0 dst_sel:DWORD dst_unused:UNUSED_PAD src0_sel:WORD_1 src1_sel:DWORD
	v_fma_f16 v0, v78, v9, -v0
	v_cvt_f32_f16_e32 v0, v0
	s_waitcnt vmcnt(0)
	v_mul_f64 v[11:12], v[6:7], s[2:3]
	v_mad_u64_u32 v[16:17], s[0:1], s10, v10, 0
	s_movk_i32 s10, 0xffe
	v_mov_b32_e32 v8, v17
	v_mad_u64_u32 v[6:7], s[0:1], s11, v10, v[8:9]
	v_lshrrev_b32_e32 v8, 8, v12
	s_movk_i32 s11, 0x40f
	v_mov_b32_e32 v17, v6
	v_and_or_b32 v6, v12, s7, v11
	v_cmp_ne_u32_e32 vcc, 0, v6
	v_cndmask_b32_e64 v6, 0, 1, vcc
	v_bfe_u32 v11, v12, 20, 11
	v_and_or_b32 v6, v8, s10, v6
	v_sub_u32_e32 v13, 0x3f1, v11
	v_or_b32_e32 v8, 0x1000, v6
	v_med3_i32 v13, v13, 0, 13
	v_lshrrev_b32_e32 v14, v13, v8
	v_lshlrev_b32_e32 v13, v13, v14
	v_cmp_ne_u32_e32 vcc, v13, v8
	v_cndmask_b32_e64 v8, 0, 1, vcc
	v_add_u32_e32 v11, 0xfffffc10, v11
	v_or_b32_e32 v8, v14, v8
	v_lshl_or_b32 v13, v11, 12, v6
	v_cmp_gt_i32_e32 vcc, 1, v11
	v_cndmask_b32_e32 v8, v13, v8, vcc
	v_and_b32_e32 v13, 7, v8
	v_cmp_lt_i32_e32 vcc, 5, v13
	v_cmp_eq_u32_e64 s[0:1], 3, v13
	v_lshrrev_b32_e32 v8, 2, v8
	s_or_b64 vcc, s[0:1], vcc
	v_addc_co_u32_e32 v13, vcc, 0, v8, vcc
	v_cvt_f64_f32_e32 v[8:9], v0
	v_mov_b32_e32 v0, 0x7c00
	v_cmp_gt_i32_e32 vcc, 31, v11
	v_cndmask_b32_e32 v13, v0, v13, vcc
	v_mul_f64 v[8:9], v[8:9], s[2:3]
	v_cmp_ne_u32_e32 vcc, 0, v6
	v_cndmask_b32_e64 v6, 0, 1, vcc
	v_lshl_or_b32 v6, v6, 9, v0
	v_cmp_eq_u32_e32 vcc, s11, v11
	v_cndmask_b32_e32 v6, v13, v6, vcc
	v_lshrrev_b32_e32 v11, 16, v12
	v_and_or_b32 v11, v11, s6, v6
	v_and_or_b32 v6, v9, s7, v8
	v_cmp_ne_u32_e32 vcc, 0, v6
	v_cndmask_b32_e64 v6, 0, 1, vcc
	v_lshrrev_b32_e32 v8, 8, v9
	v_bfe_u32 v12, v9, 20, 11
	v_and_or_b32 v6, v8, s10, v6
	v_sub_u32_e32 v13, 0x3f1, v12
	v_or_b32_e32 v8, 0x1000, v6
	v_med3_i32 v13, v13, 0, 13
	v_lshrrev_b32_e32 v14, v13, v8
	v_lshlrev_b32_e32 v13, v13, v14
	v_cmp_ne_u32_e32 vcc, v13, v8
	v_cndmask_b32_e64 v8, 0, 1, vcc
	v_add_u32_e32 v12, 0xfffffc10, v12
	v_or_b32_e32 v8, v14, v8
	v_lshl_or_b32 v13, v12, 12, v6
	v_cmp_gt_i32_e32 vcc, 1, v12
	v_cndmask_b32_e32 v8, v13, v8, vcc
	v_and_b32_e32 v13, 7, v8
	v_cmp_lt_i32_e32 vcc, 5, v13
	v_cmp_eq_u32_e64 s[0:1], 3, v13
	v_lshrrev_b32_e32 v8, 2, v8
	s_or_b64 vcc, s[0:1], vcc
	v_addc_co_u32_e32 v8, vcc, 0, v8, vcc
	ds_read_b32 v10, v73 offset:34000
	ds_read_b32 v7, v73 offset:36000
	v_cmp_gt_i32_e32 vcc, 31, v12
	v_mad_u64_u32 v[18:19], s[0:1], s8, v86, 0
	v_cndmask_b32_e32 v8, v0, v8, vcc
	v_cmp_ne_u32_e32 vcc, 0, v6
	v_cndmask_b32_e64 v6, 0, 1, vcc
	v_lshl_or_b32 v6, v6, 9, v0
	v_cmp_eq_u32_e32 vcc, s11, v12
	v_cndmask_b32_e32 v20, v8, v6, vcc
	v_mov_b32_e32 v6, v19
	v_lshrrev_b32_e32 v21, 16, v9
	s_waitcnt lgkmcnt(0)
	v_mad_u64_u32 v[8:9], s[0:1], s9, v86, v[6:7]
	ds_read_b32 v12, v73 offset:24000
	ds_read_b32 v22, v73 offset:10000
	;; [unrolled: 1-line block ×8, first 2 shown]
	s_waitcnt lgkmcnt(6)
	v_lshrrev_b32_e32 v24, 16, v22
	v_mul_f16_sdwa v19, v90, v24 dst_sel:DWORD dst_unused:UNUSED_PAD src0_sel:WORD_1 src1_sel:DWORD
	v_fma_f16 v19, v90, v22, v19
	v_cvt_f32_f16_e32 v25, v19
	v_and_or_b32 v26, v21, s6, v20
	v_lshlrev_b64 v[16:17], 2, v[16:17]
	v_mov_b32_e32 v19, v8
	v_cvt_f64_f32_e32 v[20:21], v25
	v_and_b32_e32 v8, 0xffff, v11
	v_mov_b32_e32 v11, s5
	v_add_co_u32_e32 v25, vcc, s4, v16
	v_mul_f64 v[20:21], v[20:21], s[2:3]
	v_addc_co_u32_e32 v11, vcc, v11, v17, vcc
	v_lshlrev_b64 v[16:17], 2, v[18:19]
	v_lshl_or_b32 v8, v26, 16, v8
	v_add_co_u32_e32 v16, vcc, v25, v16
	v_addc_co_u32_e32 v17, vcc, v11, v17, vcc
	global_store_dword v[16:17], v8, off
	v_and_or_b32 v8, v21, s7, v20
	v_cmp_ne_u32_e32 vcc, 0, v8
	v_cndmask_b32_e64 v8, 0, 1, vcc
	v_lshrrev_b32_e32 v11, 8, v21
	v_bfe_u32 v18, v21, 20, 11
	v_and_or_b32 v8, v11, s10, v8
	v_sub_u32_e32 v19, 0x3f1, v18
	v_or_b32_e32 v11, 0x1000, v8
	v_med3_i32 v19, v19, 0, 13
	v_lshrrev_b32_e32 v20, v19, v11
	v_lshlrev_b32_e32 v19, v19, v20
	v_cmp_ne_u32_e32 vcc, v19, v11
	v_mul_f16_sdwa v19, v90, v22 dst_sel:DWORD dst_unused:UNUSED_PAD src0_sel:WORD_1 src1_sel:DWORD
	v_cndmask_b32_e64 v11, 0, 1, vcc
	v_fma_f16 v19, v90, v24, -v19
	v_or_b32_e32 v11, v20, v11
	v_add_u32_e32 v20, 0xfffffc10, v18
	v_cvt_f32_f16_e32 v19, v19
	v_lshl_or_b32 v18, v20, 12, v8
	v_cmp_gt_i32_e32 vcc, 1, v20
	v_cndmask_b32_e32 v11, v18, v11, vcc
	v_and_b32_e32 v18, 7, v11
	v_cmp_lt_i32_e32 vcc, 5, v18
	v_cmp_eq_u32_e64 s[0:1], 3, v18
	v_cvt_f64_f32_e32 v[18:19], v19
	v_lshrrev_b32_e32 v11, 2, v11
	s_or_b64 vcc, s[0:1], vcc
	v_addc_co_u32_e32 v11, vcc, 0, v11, vcc
	v_mul_f64 v[18:19], v[18:19], s[2:3]
	v_cmp_gt_i32_e32 vcc, 31, v20
	v_cndmask_b32_e32 v11, v0, v11, vcc
	v_cmp_ne_u32_e32 vcc, 0, v8
	v_cndmask_b32_e64 v8, 0, 1, vcc
	v_lshl_or_b32 v8, v8, 9, v0
	v_cmp_eq_u32_e32 vcc, s11, v20
	v_cndmask_b32_e32 v8, v11, v8, vcc
	v_lshrrev_b32_e32 v11, 16, v21
	v_and_or_b32 v8, v11, s6, v8
	v_and_or_b32 v11, v19, s7, v18
	v_cmp_ne_u32_e32 vcc, 0, v11
	v_cndmask_b32_e64 v11, 0, 1, vcc
	v_lshrrev_b32_e32 v18, 8, v19
	v_bfe_u32 v20, v19, 20, 11
	v_and_or_b32 v11, v18, s10, v11
	v_sub_u32_e32 v21, 0x3f1, v20
	v_or_b32_e32 v18, 0x1000, v11
	v_med3_i32 v21, v21, 0, 13
	v_lshrrev_b32_e32 v22, v21, v18
	v_lshlrev_b32_e32 v21, v21, v22
	v_cmp_ne_u32_e32 vcc, v21, v18
	v_cndmask_b32_e64 v18, 0, 1, vcc
	v_add_u32_e32 v20, 0xfffffc10, v20
	v_or_b32_e32 v18, v22, v18
	v_lshl_or_b32 v21, v20, 12, v11
	v_cmp_gt_i32_e32 vcc, 1, v20
	v_cndmask_b32_e32 v18, v21, v18, vcc
	v_and_b32_e32 v21, 7, v18
	v_cmp_lt_i32_e32 vcc, 5, v21
	v_cmp_eq_u32_e64 s[0:1], 3, v21
	v_lshrrev_b32_e32 v18, 2, v18
	s_or_b64 vcc, s[0:1], vcc
	v_addc_co_u32_e32 v18, vcc, 0, v18, vcc
	v_cmp_gt_i32_e32 vcc, 31, v20
	v_cndmask_b32_e32 v18, v0, v18, vcc
	v_cmp_ne_u32_e32 vcc, 0, v11
	v_cndmask_b32_e64 v11, 0, 1, vcc
	v_lshl_or_b32 v11, v11, 9, v0
	v_cmp_eq_u32_e32 vcc, s11, v20
	s_waitcnt lgkmcnt(1)
	v_lshrrev_b32_e32 v22, 16, v23
	v_cndmask_b32_e32 v11, v18, v11, vcc
	v_lshrrev_b32_e32 v18, 16, v19
	v_mul_f16_sdwa v19, v85, v22 dst_sel:DWORD dst_unused:UNUSED_PAD src0_sel:WORD_1 src1_sel:DWORD
	v_fma_f16 v19, v85, v23, v19
	v_cvt_f32_f16_e32 v19, v19
	v_and_or_b32 v11, v18, s6, v11
	s_mul_i32 s0, s9, 0x2710
	s_mul_hi_u32 s4, s8, 0x2710
	v_cvt_f64_f32_e32 v[18:19], v19
	v_and_b32_e32 v8, 0xffff, v8
	s_add_i32 s4, s4, s0
	s_mul_i32 s5, s8, 0x2710
	v_mul_f64 v[18:19], v[18:19], s[2:3]
	v_lshl_or_b32 v8, v11, 16, v8
	v_mov_b32_e32 v11, s4
	v_add_co_u32_e32 v20, vcc, s5, v16
	v_addc_co_u32_e32 v21, vcc, v17, v11, vcc
	global_store_dword v[20:21], v8, off
	v_and_or_b32 v8, v19, s7, v18
	v_cmp_ne_u32_e32 vcc, 0, v8
	v_cndmask_b32_e64 v8, 0, 1, vcc
	v_lshrrev_b32_e32 v11, 8, v19
	v_bfe_u32 v16, v19, 20, 11
	v_and_or_b32 v8, v11, s10, v8
	v_sub_u32_e32 v17, 0x3f1, v16
	v_or_b32_e32 v11, 0x1000, v8
	v_med3_i32 v17, v17, 0, 13
	v_lshrrev_b32_e32 v18, v17, v11
	v_lshlrev_b32_e32 v17, v17, v18
	v_cmp_ne_u32_e32 vcc, v17, v11
	v_mul_f16_sdwa v17, v85, v23 dst_sel:DWORD dst_unused:UNUSED_PAD src0_sel:WORD_1 src1_sel:DWORD
	v_cndmask_b32_e64 v11, 0, 1, vcc
	v_fma_f16 v17, v85, v22, -v17
	v_or_b32_e32 v11, v18, v11
	v_add_u32_e32 v18, 0xfffffc10, v16
	v_cvt_f32_f16_e32 v17, v17
	v_lshl_or_b32 v16, v18, 12, v8
	v_cmp_gt_i32_e32 vcc, 1, v18
	v_cndmask_b32_e32 v11, v16, v11, vcc
	v_and_b32_e32 v16, 7, v11
	v_cmp_lt_i32_e32 vcc, 5, v16
	v_cmp_eq_u32_e64 s[0:1], 3, v16
	v_cvt_f64_f32_e32 v[16:17], v17
	v_lshrrev_b32_e32 v11, 2, v11
	s_or_b64 vcc, s[0:1], vcc
	v_addc_co_u32_e32 v11, vcc, 0, v11, vcc
	v_mul_f64 v[16:17], v[16:17], s[2:3]
	v_cmp_gt_i32_e32 vcc, 31, v18
	v_cndmask_b32_e32 v11, v0, v11, vcc
	v_cmp_ne_u32_e32 vcc, 0, v8
	v_cndmask_b32_e64 v8, 0, 1, vcc
	v_lshl_or_b32 v8, v8, 9, v0
	v_cmp_eq_u32_e32 vcc, s11, v18
	v_cndmask_b32_e32 v8, v11, v8, vcc
	v_lshrrev_b32_e32 v11, 16, v19
	v_and_or_b32 v22, v11, s6, v8
	v_and_or_b32 v8, v17, s7, v16
	v_cmp_ne_u32_e32 vcc, 0, v8
	v_cndmask_b32_e64 v8, 0, 1, vcc
	v_lshrrev_b32_e32 v11, 8, v17
	v_bfe_u32 v16, v17, 20, 11
	v_and_or_b32 v8, v11, s10, v8
	v_sub_u32_e32 v18, 0x3f1, v16
	v_or_b32_e32 v11, 0x1000, v8
	v_med3_i32 v18, v18, 0, 13
	v_lshrrev_b32_e32 v19, v18, v11
	v_lshlrev_b32_e32 v18, v18, v19
	v_cmp_ne_u32_e32 vcc, v18, v11
	ds_read_b32 v23, v73 offset:30000
	v_cndmask_b32_e64 v11, 0, 1, vcc
	v_add_u32_e32 v18, 0xfffffc10, v16
	v_or_b32_e32 v11, v19, v11
	v_lshl_or_b32 v16, v18, 12, v8
	v_cmp_gt_i32_e32 vcc, 1, v18
	v_cndmask_b32_e32 v11, v16, v11, vcc
	v_and_b32_e32 v16, 7, v11
	v_cmp_lt_i32_e32 vcc, 5, v16
	v_cmp_eq_u32_e64 s[0:1], 3, v16
	s_waitcnt lgkmcnt(0)
	v_lshrrev_b32_e32 v25, 16, v23
	v_lshrrev_b32_e32 v11, 2, v11
	s_or_b64 vcc, s[0:1], vcc
	v_mul_f16_sdwa v26, v84, v25 dst_sel:DWORD dst_unused:UNUSED_PAD src0_sel:WORD_1 src1_sel:DWORD
	v_addc_co_u32_e32 v11, vcc, 0, v11, vcc
	v_fma_f16 v26, v84, v23, v26
	v_cmp_gt_i32_e32 vcc, 31, v18
	v_cvt_f32_f16_e32 v26, v26
	v_cndmask_b32_e32 v19, v0, v11, vcc
	v_cmp_ne_u32_e32 vcc, 0, v8
	v_cndmask_b32_e64 v24, 0, 1, vcc
	v_lshl_or_b32 v24, v24, 9, v0
	v_cmp_eq_u32_e32 vcc, s11, v18
	v_cndmask_b32_e32 v24, v19, v24, vcc
	v_cvt_f64_f32_e32 v[18:19], v26
	v_lshrrev_b32_e32 v17, 16, v17
	v_and_or_b32 v24, v17, s6, v24
	v_and_b32_e32 v22, 0xffff, v22
	v_mul_f64 v[17:18], v[18:19], s[2:3]
	v_lshl_or_b32 v22, v24, 16, v22
	v_mov_b32_e32 v24, s4
	v_add_co_u32_e32 v19, vcc, s5, v20
	v_addc_co_u32_e32 v20, vcc, v21, v24, vcc
	ds_read_b32 v16, v73 offset:32000
	ds_read_b32 v11, v73 offset:26000
	;; [unrolled: 1-line block ×3, first 2 shown]
	v_and_or_b32 v17, v18, s7, v17
	v_cmp_ne_u32_e32 vcc, 0, v17
	global_store_dword v[19:20], v22, off
	v_cndmask_b32_e64 v17, 0, 1, vcc
	v_lshrrev_b32_e32 v21, 8, v18
	v_bfe_u32 v22, v18, 20, 11
	v_and_or_b32 v17, v21, s10, v17
	v_sub_u32_e32 v24, 0x3f1, v22
	v_or_b32_e32 v21, 0x1000, v17
	v_med3_i32 v24, v24, 0, 13
	v_lshrrev_b32_e32 v26, v24, v21
	v_lshlrev_b32_e32 v24, v24, v26
	v_cmp_ne_u32_e32 vcc, v24, v21
	v_cndmask_b32_e64 v21, 0, 1, vcc
	v_or_b32_e32 v21, v26, v21
	buffer_load_dword v26, off, s[20:23], 0 offset:68 ; 4-byte Folded Reload
	v_mul_f16_sdwa v23, v84, v23 dst_sel:DWORD dst_unused:UNUSED_PAD src0_sel:WORD_1 src1_sel:DWORD
	v_fma_f16 v23, v84, v25, -v23
	v_add_u32_e32 v24, 0xfffffc10, v22
	v_cvt_f32_f16_e32 v23, v23
	v_lshl_or_b32 v22, v24, 12, v17
	v_cmp_gt_i32_e32 vcc, 1, v24
	v_cndmask_b32_e32 v21, v22, v21, vcc
	v_and_b32_e32 v22, 7, v21
	v_cmp_lt_i32_e32 vcc, 5, v22
	v_cmp_eq_u32_e64 s[0:1], 3, v22
	v_lshrrev_b32_e32 v25, 2, v21
	v_cvt_f64_f32_e32 v[21:22], v23
	s_or_b64 vcc, s[0:1], vcc
	v_addc_co_u32_e32 v23, vcc, 0, v25, vcc
	v_mul_f64 v[21:22], v[21:22], s[2:3]
	v_cmp_gt_i32_e32 vcc, 31, v24
	v_cndmask_b32_e32 v23, v0, v23, vcc
	v_cmp_ne_u32_e32 vcc, 0, v17
	v_cndmask_b32_e64 v17, 0, 1, vcc
	v_lshl_or_b32 v17, v17, 9, v0
	v_cmp_eq_u32_e32 vcc, s11, v24
	v_cndmask_b32_e32 v17, v23, v17, vcc
	v_lshrrev_b32_e32 v18, 16, v18
	v_and_or_b32 v23, v18, s6, v17
	v_and_or_b32 v17, v22, s7, v21
	v_cmp_ne_u32_e32 vcc, 0, v17
	v_cndmask_b32_e64 v17, 0, 1, vcc
	v_lshrrev_b32_e32 v18, 8, v22
	v_bfe_u32 v21, v22, 20, 11
	v_and_or_b32 v17, v18, s10, v17
	v_sub_u32_e32 v24, 0x3f1, v21
	v_or_b32_e32 v18, 0x1000, v17
	v_med3_i32 v24, v24, 0, 13
	v_lshrrev_b32_e32 v25, v24, v18
	v_lshlrev_b32_e32 v24, v24, v25
	v_cmp_ne_u32_e32 vcc, v24, v18
	v_cndmask_b32_e64 v18, 0, 1, vcc
	v_add_u32_e32 v21, 0xfffffc10, v21
	v_or_b32_e32 v18, v25, v18
	v_lshl_or_b32 v24, v21, 12, v17
	v_cmp_gt_i32_e32 vcc, 1, v21
	v_cndmask_b32_e32 v18, v24, v18, vcc
	v_and_b32_e32 v24, 7, v18
	v_cmp_lt_i32_e32 vcc, 5, v24
	v_cmp_eq_u32_e64 s[0:1], 3, v24
	v_lshrrev_b32_e32 v24, 16, v1
	v_lshrrev_b32_e32 v18, 2, v18
	s_or_b64 vcc, s[0:1], vcc
	v_addc_co_u32_e32 v18, vcc, 0, v18, vcc
	v_cmp_gt_i32_e32 vcc, 31, v21
	v_cndmask_b32_e32 v18, v0, v18, vcc
	v_cmp_ne_u32_e32 vcc, 0, v17
	v_cndmask_b32_e64 v17, 0, 1, vcc
	v_lshl_or_b32 v17, v17, 9, v0
	v_cmp_eq_u32_e32 vcc, s11, v21
	v_cndmask_b32_e32 v21, v18, v17, vcc
	v_lshrrev_b32_e32 v22, 16, v22
	v_and_or_b32 v21, v22, s6, v21
	v_and_b32_e32 v22, 0xffff, v23
	v_lshl_or_b32 v21, v21, 16, v22
	v_mov_b32_e32 v22, s4
	v_add_co_u32_e32 v19, vcc, s5, v19
	v_addc_co_u32_e32 v20, vcc, v20, v22, vcc
	global_store_dword v[19:20], v21, off
	s_waitcnt vmcnt(1)
	v_mul_f16_sdwa v25, v26, v24 dst_sel:DWORD dst_unused:UNUSED_PAD src0_sel:WORD_1 src1_sel:DWORD
	v_fma_f16 v25, v26, v1, v25
	v_cvt_f32_f16_e32 v25, v25
	v_mul_f16_sdwa v1, v26, v1 dst_sel:DWORD dst_unused:UNUSED_PAD src0_sel:WORD_1 src1_sel:DWORD
	v_fma_f16 v1, v26, v24, -v1
	v_cvt_f32_f16_e32 v1, v1
	v_cvt_f64_f32_e32 v[17:18], v25
	v_mul_f64 v[17:18], v[17:18], s[2:3]
	v_and_or_b32 v17, v18, s7, v17
	v_cmp_ne_u32_e32 vcc, 0, v17
	v_cndmask_b32_e64 v17, 0, 1, vcc
	v_lshrrev_b32_e32 v21, 8, v18
	v_bfe_u32 v22, v18, 20, 11
	v_and_or_b32 v17, v21, s10, v17
	v_sub_u32_e32 v23, 0x3f1, v22
	v_or_b32_e32 v21, 0x1000, v17
	v_med3_i32 v23, v23, 0, 13
	v_lshrrev_b32_e32 v25, v23, v21
	v_lshlrev_b32_e32 v23, v23, v25
	v_cmp_ne_u32_e32 vcc, v23, v21
	v_cndmask_b32_e64 v21, 0, 1, vcc
	v_add_u32_e32 v23, 0xfffffc10, v22
	v_or_b32_e32 v21, v25, v21
	v_lshl_or_b32 v22, v23, 12, v17
	v_cmp_gt_i32_e32 vcc, 1, v23
	v_cndmask_b32_e32 v21, v22, v21, vcc
	v_and_b32_e32 v22, 7, v21
	v_cmp_lt_i32_e32 vcc, 5, v22
	v_cmp_eq_u32_e64 s[0:1], 3, v22
	v_lshrrev_b32_e32 v24, 2, v21
	v_cvt_f64_f32_e32 v[21:22], v1
	s_or_b64 vcc, s[0:1], vcc
	v_addc_co_u32_e32 v1, vcc, 0, v24, vcc
	v_mul_f64 v[21:22], v[21:22], s[2:3]
	v_cmp_gt_i32_e32 vcc, 31, v23
	v_cndmask_b32_e32 v1, v0, v1, vcc
	v_cmp_ne_u32_e32 vcc, 0, v17
	v_cndmask_b32_e64 v17, 0, 1, vcc
	v_lshl_or_b32 v17, v17, 9, v0
	v_cmp_eq_u32_e32 vcc, s11, v23
	v_cndmask_b32_e32 v1, v1, v17, vcc
	v_lshrrev_b32_e32 v17, 16, v18
	v_and_or_b32 v1, v17, s6, v1
	v_and_or_b32 v17, v22, s7, v21
	v_cmp_ne_u32_e32 vcc, 0, v17
	v_cndmask_b32_e64 v17, 0, 1, vcc
	v_lshrrev_b32_e32 v18, 8, v22
	v_bfe_u32 v21, v22, 20, 11
	v_and_or_b32 v17, v18, s10, v17
	v_sub_u32_e32 v23, 0x3f1, v21
	v_or_b32_e32 v18, 0x1000, v17
	v_med3_i32 v23, v23, 0, 13
	v_lshrrev_b32_e32 v24, v23, v18
	v_lshlrev_b32_e32 v23, v23, v24
	v_cmp_ne_u32_e32 vcc, v23, v18
	v_cndmask_b32_e64 v18, 0, 1, vcc
	v_add_u32_e32 v21, 0xfffffc10, v21
	v_or_b32_e32 v18, v24, v18
	v_lshl_or_b32 v23, v21, 12, v17
	v_cmp_gt_i32_e32 vcc, 1, v21
	v_cndmask_b32_e32 v18, v23, v18, vcc
	v_and_b32_e32 v23, 7, v18
	v_cmp_lt_i32_e32 vcc, 5, v23
	v_cmp_eq_u32_e64 s[0:1], 3, v23
	v_lshrrev_b32_e32 v18, 2, v18
	s_or_b64 vcc, s[0:1], vcc
	v_addc_co_u32_e32 v18, vcc, 0, v18, vcc
	v_cmp_gt_i32_e32 vcc, 31, v21
	v_cndmask_b32_e32 v18, v0, v18, vcc
	v_cmp_ne_u32_e32 vcc, 0, v17
	v_cndmask_b32_e64 v17, 0, 1, vcc
	v_lshl_or_b32 v17, v17, 9, v0
	v_cmp_eq_u32_e32 vcc, s11, v21
	v_cndmask_b32_e32 v17, v18, v17, vcc
	v_lshrrev_b32_e32 v18, 16, v22
	buffer_load_dword v22, off, s[20:23], 0 offset:56 ; 4-byte Folded Reload
	v_lshrrev_b32_e32 v21, 16, v15
	v_and_or_b32 v17, v18, s6, v17
	v_and_b32_e32 v1, 0xffff, v1
	v_lshl_or_b32 v1, v17, 16, v1
	s_mul_hi_u32 s1, s8, 0xffff92a0
	s_mul_i32 s0, s9, 0xffff92a0
	s_sub_i32 s9, s1, s8
	s_add_i32 s9, s9, s0
	s_mulk_i32 s8, 0x92a0
	v_add_co_u32_e32 v19, vcc, s8, v19
	s_waitcnt vmcnt(0)
	v_mul_f16_sdwa v18, v22, v21 dst_sel:DWORD dst_unused:UNUSED_PAD src0_sel:WORD_1 src1_sel:DWORD
	v_fma_f16 v18, v22, v15, v18
	v_cvt_f32_f16_e32 v18, v18
	v_mov_b32_e32 v25, v22
	v_mov_b32_e32 v22, s9
	v_addc_co_u32_e32 v20, vcc, v20, v22, vcc
	v_cvt_f64_f32_e32 v[17:18], v18
	global_store_dword v[19:20], v1, off
	v_mul_f16_sdwa v15, v25, v15 dst_sel:DWORD dst_unused:UNUSED_PAD src0_sel:WORD_1 src1_sel:DWORD
	v_fma_f16 v15, v25, v21, -v15
	v_mul_f64 v[17:18], v[17:18], s[2:3]
	v_cvt_f32_f16_e32 v15, v15
	v_and_or_b32 v1, v18, s7, v17
	v_cmp_ne_u32_e32 vcc, 0, v1
	v_cndmask_b32_e64 v1, 0, 1, vcc
	v_lshrrev_b32_e32 v17, 8, v18
	v_bfe_u32 v22, v18, 20, 11
	v_and_or_b32 v1, v17, s10, v1
	v_sub_u32_e32 v23, 0x3f1, v22
	v_or_b32_e32 v17, 0x1000, v1
	v_med3_i32 v23, v23, 0, 13
	v_lshrrev_b32_e32 v24, v23, v17
	v_lshlrev_b32_e32 v23, v23, v24
	v_cmp_ne_u32_e32 vcc, v23, v17
	v_cndmask_b32_e64 v17, 0, 1, vcc
	v_or_b32_e32 v17, v24, v17
	buffer_load_dword v24, off, s[20:23], 0 offset:52 ; 4-byte Folded Reload
	v_add_u32_e32 v23, 0xfffffc10, v22
	v_lshl_or_b32 v22, v23, 12, v1
	v_cmp_gt_i32_e32 vcc, 1, v23
	v_cndmask_b32_e32 v17, v22, v17, vcc
	v_and_b32_e32 v22, 7, v17
	v_cmp_lt_i32_e32 vcc, 5, v22
	v_cmp_eq_u32_e64 s[0:1], 3, v22
	v_cvt_f64_f32_e32 v[21:22], v15
	v_lshrrev_b32_e32 v17, 2, v17
	s_or_b64 vcc, s[0:1], vcc
	v_addc_co_u32_e32 v15, vcc, 0, v17, vcc
	v_mul_f64 v[21:22], v[21:22], s[2:3]
	v_cmp_gt_i32_e32 vcc, 31, v23
	v_cndmask_b32_e32 v15, v0, v15, vcc
	v_cmp_ne_u32_e32 vcc, 0, v1
	v_cndmask_b32_e64 v1, 0, 1, vcc
	v_lshl_or_b32 v1, v1, 9, v0
	v_cmp_eq_u32_e32 vcc, s11, v23
	v_cndmask_b32_e32 v1, v15, v1, vcc
	v_lshrrev_b32_e32 v15, 16, v18
	v_and_or_b32 v1, v15, s6, v1
	v_and_or_b32 v15, v22, s7, v21
	v_cmp_ne_u32_e32 vcc, 0, v15
	v_cndmask_b32_e64 v15, 0, 1, vcc
	v_lshrrev_b32_e32 v17, 8, v22
	v_bfe_u32 v18, v22, 20, 11
	v_and_or_b32 v15, v17, s10, v15
	v_sub_u32_e32 v21, 0x3f1, v18
	v_or_b32_e32 v17, 0x1000, v15
	v_med3_i32 v21, v21, 0, 13
	v_lshrrev_b32_e32 v23, v21, v17
	v_lshlrev_b32_e32 v21, v21, v23
	v_cmp_ne_u32_e32 vcc, v21, v17
	v_cndmask_b32_e64 v17, 0, 1, vcc
	v_add_u32_e32 v18, 0xfffffc10, v18
	v_or_b32_e32 v17, v23, v17
	v_lshl_or_b32 v21, v18, 12, v15
	v_cmp_gt_i32_e32 vcc, 1, v18
	v_cndmask_b32_e32 v17, v21, v17, vcc
	v_and_b32_e32 v21, 7, v17
	v_cmp_lt_i32_e32 vcc, 5, v21
	v_cmp_eq_u32_e64 s[0:1], 3, v21
	v_lshrrev_b32_e32 v21, 16, v14
	v_lshrrev_b32_e32 v17, 2, v17
	s_or_b64 vcc, s[0:1], vcc
	v_addc_co_u32_e32 v17, vcc, 0, v17, vcc
	v_cmp_gt_i32_e32 vcc, 31, v18
	v_cndmask_b32_e32 v17, v0, v17, vcc
	v_cmp_ne_u32_e32 vcc, 0, v15
	v_cndmask_b32_e64 v15, 0, 1, vcc
	v_lshl_or_b32 v15, v15, 9, v0
	v_cmp_eq_u32_e32 vcc, s11, v18
	v_cndmask_b32_e32 v15, v17, v15, vcc
	v_lshrrev_b32_e32 v22, 16, v22
	v_and_or_b32 v15, v22, s6, v15
	v_and_b32_e32 v1, 0xffff, v1
	v_lshl_or_b32 v1, v15, 16, v1
	v_mov_b32_e32 v15, s4
	v_add_co_u32_e32 v19, vcc, s5, v19
	v_addc_co_u32_e32 v20, vcc, v20, v15, vcc
	global_store_dword v[19:20], v1, off
	s_waitcnt vmcnt(1)
	v_mul_f16_sdwa v23, v24, v21 dst_sel:DWORD dst_unused:UNUSED_PAD src0_sel:WORD_1 src1_sel:DWORD
	v_fma_f16 v23, v24, v14, v23
	v_cvt_f32_f16_e32 v23, v23
	v_mul_f16_sdwa v14, v24, v14 dst_sel:DWORD dst_unused:UNUSED_PAD src0_sel:WORD_1 src1_sel:DWORD
	v_fma_f16 v14, v24, v21, -v14
	v_cvt_f32_f16_e32 v14, v14
	v_cvt_f64_f32_e32 v[17:18], v23
	v_mul_f64 v[17:18], v[17:18], s[2:3]
	v_and_or_b32 v1, v18, s7, v17
	v_cmp_ne_u32_e32 vcc, 0, v1
	v_cndmask_b32_e64 v1, 0, 1, vcc
	v_lshrrev_b32_e32 v15, 8, v18
	v_bfe_u32 v17, v18, 20, 11
	v_and_or_b32 v1, v15, s10, v1
	v_sub_u32_e32 v22, 0x3f1, v17
	v_or_b32_e32 v15, 0x1000, v1
	v_med3_i32 v22, v22, 0, 13
	v_lshrrev_b32_e32 v23, v22, v15
	v_lshlrev_b32_e32 v22, v22, v23
	v_cmp_ne_u32_e32 vcc, v22, v15
	v_cndmask_b32_e64 v15, 0, 1, vcc
	v_or_b32_e32 v15, v23, v15
	buffer_load_dword v23, off, s[20:23], 0 offset:44 ; 4-byte Folded Reload
	v_add_u32_e32 v17, 0xfffffc10, v17
	v_lshl_or_b32 v22, v17, 12, v1
	v_cmp_gt_i32_e32 vcc, 1, v17
	v_cndmask_b32_e32 v15, v22, v15, vcc
	v_and_b32_e32 v22, 7, v15
	v_lshrrev_b32_e32 v21, 2, v15
	v_cvt_f64_f32_e32 v[14:15], v14
	v_cmp_lt_i32_e32 vcc, 5, v22
	v_cmp_eq_u32_e64 s[0:1], 3, v22
	s_or_b64 vcc, s[0:1], vcc
	v_mul_f64 v[14:15], v[14:15], s[2:3]
	v_addc_co_u32_e32 v21, vcc, 0, v21, vcc
	v_cmp_gt_i32_e32 vcc, 31, v17
	v_cndmask_b32_e32 v21, v0, v21, vcc
	v_cmp_ne_u32_e32 vcc, 0, v1
	v_cndmask_b32_e64 v1, 0, 1, vcc
	v_lshl_or_b32 v1, v1, 9, v0
	v_cmp_eq_u32_e32 vcc, s11, v17
	v_and_or_b32 v14, v15, s7, v14
	v_cndmask_b32_e32 v1, v21, v1, vcc
	v_lshrrev_b32_e32 v17, 16, v18
	v_cmp_ne_u32_e32 vcc, 0, v14
	v_and_or_b32 v1, v17, s6, v1
	v_cndmask_b32_e64 v14, 0, 1, vcc
	v_lshrrev_b32_e32 v17, 8, v15
	v_bfe_u32 v18, v15, 20, 11
	v_and_or_b32 v14, v17, s10, v14
	v_sub_u32_e32 v21, 0x3f1, v18
	v_or_b32_e32 v17, 0x1000, v14
	v_med3_i32 v21, v21, 0, 13
	v_lshrrev_b32_e32 v22, v21, v17
	v_lshlrev_b32_e32 v21, v21, v22
	v_cmp_ne_u32_e32 vcc, v21, v17
	v_cndmask_b32_e64 v17, 0, 1, vcc
	v_add_u32_e32 v18, 0xfffffc10, v18
	v_or_b32_e32 v17, v22, v17
	v_lshl_or_b32 v21, v18, 12, v14
	v_cmp_gt_i32_e32 vcc, 1, v18
	v_cndmask_b32_e32 v17, v21, v17, vcc
	v_and_b32_e32 v21, 7, v17
	v_cmp_lt_i32_e32 vcc, 5, v21
	v_cmp_eq_u32_e64 s[0:1], 3, v21
	s_waitcnt lgkmcnt(2)
	v_lshrrev_b32_e32 v21, 16, v16
	v_lshrrev_b32_e32 v17, 2, v17
	s_or_b64 vcc, s[0:1], vcc
	v_addc_co_u32_e32 v17, vcc, 0, v17, vcc
	v_cmp_gt_i32_e32 vcc, 31, v18
	v_cndmask_b32_e32 v17, v0, v17, vcc
	v_cmp_ne_u32_e32 vcc, 0, v14
	v_cndmask_b32_e64 v14, 0, 1, vcc
	v_lshl_or_b32 v14, v14, 9, v0
	v_cmp_eq_u32_e32 vcc, s11, v18
	v_cndmask_b32_e32 v14, v17, v14, vcc
	v_lshrrev_b32_e32 v15, 16, v15
	v_and_b32_e32 v1, 0xffff, v1
	s_waitcnt vmcnt(0)
	v_mul_f16_sdwa v22, v23, v21 dst_sel:DWORD dst_unused:UNUSED_PAD src0_sel:WORD_1 src1_sel:DWORD
	v_fma_f16 v22, v23, v16, v22
	v_cvt_f32_f16_e32 v22, v22
	v_mul_f16_sdwa v16, v23, v16 dst_sel:DWORD dst_unused:UNUSED_PAD src0_sel:WORD_1 src1_sel:DWORD
	v_fma_f16 v16, v23, v21, -v16
	v_cvt_f32_f16_e32 v16, v16
	v_cvt_f64_f32_e32 v[17:18], v22
	v_and_or_b32 v22, v15, s6, v14
	v_lshl_or_b32 v1, v22, 16, v1
	v_mul_f64 v[14:15], v[17:18], s[2:3]
	v_mov_b32_e32 v18, s4
	v_add_co_u32_e32 v17, vcc, s5, v19
	v_addc_co_u32_e32 v18, vcc, v20, v18, vcc
	global_store_dword v[17:18], v1, off
	v_and_or_b32 v1, v15, s7, v14
	v_cmp_ne_u32_e32 vcc, 0, v1
	v_cndmask_b32_e64 v1, 0, 1, vcc
	v_lshrrev_b32_e32 v14, 8, v15
	v_bfe_u32 v19, v15, 20, 11
	v_and_or_b32 v1, v14, s10, v1
	v_sub_u32_e32 v20, 0x3f1, v19
	v_or_b32_e32 v14, 0x1000, v1
	v_med3_i32 v20, v20, 0, 13
	v_lshrrev_b32_e32 v22, v20, v14
	v_lshlrev_b32_e32 v20, v20, v22
	v_cmp_ne_u32_e32 vcc, v20, v14
	v_cndmask_b32_e64 v14, 0, 1, vcc
	v_or_b32_e32 v14, v22, v14
	v_add_u32_e32 v22, 0xfffffc10, v19
	v_lshl_or_b32 v19, v22, 12, v1
	v_cmp_gt_i32_e32 vcc, 1, v22
	v_cndmask_b32_e32 v14, v19, v14, vcc
	v_and_b32_e32 v19, 7, v14
	v_cmp_lt_i32_e32 vcc, 5, v19
	v_cmp_eq_u32_e64 s[0:1], 3, v19
	v_lshrrev_b32_e32 v14, 2, v14
	s_or_b64 vcc, s[0:1], vcc
	v_addc_co_u32_e32 v14, vcc, 0, v14, vcc
	v_cmp_gt_i32_e32 vcc, 31, v22
	v_cndmask_b32_e32 v14, v0, v14, vcc
	v_cmp_ne_u32_e32 vcc, 0, v1
	v_cndmask_b32_e64 v1, 0, 1, vcc
	v_cmp_eq_u32_e32 vcc, s11, v22
	buffer_load_dword v22, off, s[20:23], 0 offset:48 ; 4-byte Folded Reload
	v_cvt_f64_f32_e32 v[19:20], v16
	v_lshl_or_b32 v1, v1, 9, v0
	v_cndmask_b32_e32 v1, v14, v1, vcc
	v_lshrrev_b32_e32 v14, 16, v15
	v_mul_f64 v[19:20], v[19:20], s[2:3]
	v_and_or_b32 v1, v14, s6, v1
	v_and_b32_e32 v1, 0xffff, v1
	v_and_or_b32 v14, v20, s7, v19
	v_cmp_ne_u32_e32 vcc, 0, v14
	v_cndmask_b32_e64 v14, 0, 1, vcc
	v_lshrrev_b32_e32 v15, 8, v20
	v_bfe_u32 v16, v20, 20, 11
	v_and_or_b32 v14, v15, s10, v14
	v_sub_u32_e32 v19, 0x3f1, v16
	v_or_b32_e32 v15, 0x1000, v14
	v_med3_i32 v19, v19, 0, 13
	v_lshrrev_b32_e32 v21, v19, v15
	v_lshlrev_b32_e32 v19, v19, v21
	v_cmp_ne_u32_e32 vcc, v19, v15
	v_cndmask_b32_e64 v15, 0, 1, vcc
	v_add_u32_e32 v16, 0xfffffc10, v16
	v_or_b32_e32 v15, v21, v15
	v_lshl_or_b32 v19, v16, 12, v14
	v_cmp_gt_i32_e32 vcc, 1, v16
	v_cndmask_b32_e32 v15, v19, v15, vcc
	v_and_b32_e32 v19, 7, v15
	v_cmp_lt_i32_e32 vcc, 5, v19
	v_cmp_eq_u32_e64 s[0:1], 3, v19
	v_lshrrev_b32_e32 v19, 16, v2
	v_lshrrev_b32_e32 v15, 2, v15
	s_or_b64 vcc, s[0:1], vcc
	v_addc_co_u32_e32 v15, vcc, 0, v15, vcc
	v_cmp_gt_i32_e32 vcc, 31, v16
	v_cndmask_b32_e32 v15, v0, v15, vcc
	v_cmp_ne_u32_e32 vcc, 0, v14
	v_cndmask_b32_e64 v14, 0, 1, vcc
	v_lshl_or_b32 v14, v14, 9, v0
	v_cmp_eq_u32_e32 vcc, s11, v16
	v_cndmask_b32_e32 v16, v15, v14, vcc
	v_lshrrev_b32_e32 v20, 16, v20
	v_and_or_b32 v16, v20, s6, v16
	v_lshl_or_b32 v1, v16, 16, v1
	v_mov_b32_e32 v20, s4
	v_add_co_u32_e32 v16, vcc, s5, v17
	v_addc_co_u32_e32 v17, vcc, v18, v20, vcc
	global_store_dword v[16:17], v1, off
	s_waitcnt vmcnt(1)
	v_mul_f16_sdwa v21, v22, v19 dst_sel:DWORD dst_unused:UNUSED_PAD src0_sel:WORD_1 src1_sel:DWORD
	v_fma_f16 v21, v22, v2, v21
	v_cvt_f32_f16_e32 v21, v21
	v_mul_f16_sdwa v2, v22, v2 dst_sel:DWORD dst_unused:UNUSED_PAD src0_sel:WORD_1 src1_sel:DWORD
	v_fma_f16 v2, v22, v19, -v2
	v_cvt_f32_f16_e32 v2, v2
	v_cvt_f64_f32_e32 v[14:15], v21
	v_mul_f64 v[14:15], v[14:15], s[2:3]
	v_and_or_b32 v1, v15, s7, v14
	v_cmp_ne_u32_e32 vcc, 0, v1
	v_cndmask_b32_e64 v1, 0, 1, vcc
	v_lshrrev_b32_e32 v14, 8, v15
	v_bfe_u32 v18, v15, 20, 11
	v_and_or_b32 v14, v14, s10, v1
	v_sub_u32_e32 v20, 0x3f1, v18
	v_or_b32_e32 v1, 0x1000, v14
	v_med3_i32 v20, v20, 0, 13
	v_lshrrev_b32_e32 v21, v20, v1
	v_lshlrev_b32_e32 v20, v20, v21
	v_cmp_ne_u32_e32 vcc, v20, v1
	v_cndmask_b32_e64 v1, 0, 1, vcc
	v_or_b32_e32 v1, v21, v1
	buffer_load_dword v21, off, s[20:23], 0 offset:40 ; 4-byte Folded Reload
	v_add_u32_e32 v18, 0xfffffc10, v18
	v_lshl_or_b32 v20, v18, 12, v14
	v_cmp_gt_i32_e32 vcc, 1, v18
	v_cndmask_b32_e32 v1, v20, v1, vcc
	v_and_b32_e32 v20, 7, v1
	v_lshrrev_b32_e32 v19, 2, v1
	v_cvt_f64_f32_e32 v[1:2], v2
	v_cmp_lt_i32_e32 vcc, 5, v20
	v_cmp_eq_u32_e64 s[0:1], 3, v20
	s_or_b64 vcc, s[0:1], vcc
	v_mul_f64 v[1:2], v[1:2], s[2:3]
	v_addc_co_u32_e32 v19, vcc, 0, v19, vcc
	v_cmp_gt_i32_e32 vcc, 31, v18
	v_cndmask_b32_e32 v19, v0, v19, vcc
	v_cmp_ne_u32_e32 vcc, 0, v14
	v_cndmask_b32_e64 v14, 0, 1, vcc
	v_lshl_or_b32 v14, v14, 9, v0
	v_cmp_eq_u32_e32 vcc, s11, v18
	v_and_or_b32 v1, v2, s7, v1
	v_cndmask_b32_e32 v14, v19, v14, vcc
	v_lshrrev_b32_e32 v15, 16, v15
	v_cmp_ne_u32_e32 vcc, 0, v1
	v_and_or_b32 v18, v15, s6, v14
	v_cndmask_b32_e64 v1, 0, 1, vcc
	v_lshrrev_b32_e32 v14, 8, v2
	v_bfe_u32 v15, v2, 20, 11
	v_and_or_b32 v1, v14, s10, v1
	v_sub_u32_e32 v19, 0x3f1, v15
	v_or_b32_e32 v14, 0x1000, v1
	v_med3_i32 v19, v19, 0, 13
	v_lshrrev_b32_e32 v20, v19, v14
	v_lshlrev_b32_e32 v19, v19, v20
	v_cmp_ne_u32_e32 vcc, v19, v14
	v_cndmask_b32_e64 v14, 0, 1, vcc
	v_add_u32_e32 v15, 0xfffffc10, v15
	v_or_b32_e32 v14, v20, v14
	v_lshl_or_b32 v19, v15, 12, v1
	v_cmp_gt_i32_e32 vcc, 1, v15
	v_cndmask_b32_e32 v14, v19, v14, vcc
	v_and_b32_e32 v19, 7, v14
	v_cmp_lt_i32_e32 vcc, 5, v19
	v_cmp_eq_u32_e64 s[0:1], 3, v19
	v_lshrrev_b32_e32 v19, 16, v13
	v_lshrrev_b32_e32 v14, 2, v14
	s_or_b64 vcc, s[0:1], vcc
	v_addc_co_u32_e32 v14, vcc, 0, v14, vcc
	v_cmp_gt_i32_e32 vcc, 31, v15
	v_cndmask_b32_e32 v14, v0, v14, vcc
	v_cmp_ne_u32_e32 vcc, 0, v1
	v_cndmask_b32_e64 v1, 0, 1, vcc
	v_lshl_or_b32 v1, v1, 9, v0
	v_cmp_eq_u32_e32 vcc, s11, v15
	v_cndmask_b32_e32 v1, v14, v1, vcc
	v_lshrrev_b32_e32 v2, 16, v2
	v_and_b32_e32 v18, 0xffff, v18
	s_waitcnt vmcnt(0)
	v_mul_f16_sdwa v20, v21, v19 dst_sel:DWORD dst_unused:UNUSED_PAD src0_sel:WORD_1 src1_sel:DWORD
	v_fma_f16 v20, v21, v13, v20
	v_cvt_f32_f16_e32 v20, v20
	v_mul_f16_sdwa v13, v21, v13 dst_sel:DWORD dst_unused:UNUSED_PAD src0_sel:WORD_1 src1_sel:DWORD
	v_fma_f16 v13, v21, v19, -v13
	v_cvt_f32_f16_e32 v13, v13
	v_cvt_f64_f32_e32 v[14:15], v20
	v_and_or_b32 v20, v2, s6, v1
	v_lshl_or_b32 v18, v20, 16, v18
	v_mul_f64 v[1:2], v[14:15], s[2:3]
	v_mov_b32_e32 v15, s9
	v_add_co_u32_e32 v14, vcc, s8, v16
	v_addc_co_u32_e32 v15, vcc, v17, v15, vcc
	global_store_dword v[14:15], v18, off
	v_and_or_b32 v1, v2, s7, v1
	v_cmp_ne_u32_e32 vcc, 0, v1
	v_cndmask_b32_e64 v1, 0, 1, vcc
	v_lshrrev_b32_e32 v16, 8, v2
	v_bfe_u32 v17, v2, 20, 11
	v_and_or_b32 v1, v16, s10, v1
	v_sub_u32_e32 v18, 0x3f1, v17
	v_or_b32_e32 v16, 0x1000, v1
	v_med3_i32 v18, v18, 0, 13
	v_lshrrev_b32_e32 v20, v18, v16
	v_lshlrev_b32_e32 v18, v18, v20
	v_cmp_ne_u32_e32 vcc, v18, v16
	v_cndmask_b32_e64 v16, 0, 1, vcc
	v_or_b32_e32 v16, v20, v16
	buffer_load_dword v20, off, s[20:23], 0 offset:36 ; 4-byte Folded Reload
	v_add_u32_e32 v18, 0xfffffc10, v17
	v_lshl_or_b32 v17, v18, 12, v1
	v_cmp_gt_i32_e32 vcc, 1, v18
	v_cndmask_b32_e32 v16, v17, v16, vcc
	v_and_b32_e32 v17, 7, v16
	v_cmp_lt_i32_e32 vcc, 5, v17
	v_cmp_eq_u32_e64 s[0:1], 3, v17
	v_lshrrev_b32_e32 v19, 2, v16
	v_cvt_f64_f32_e32 v[16:17], v13
	s_or_b64 vcc, s[0:1], vcc
	v_addc_co_u32_e32 v13, vcc, 0, v19, vcc
	v_mul_f64 v[16:17], v[16:17], s[2:3]
	v_cmp_gt_i32_e32 vcc, 31, v18
	v_cndmask_b32_e32 v13, v0, v13, vcc
	v_cmp_ne_u32_e32 vcc, 0, v1
	v_cndmask_b32_e64 v1, 0, 1, vcc
	v_lshl_or_b32 v1, v1, 9, v0
	v_cmp_eq_u32_e32 vcc, s11, v18
	v_cndmask_b32_e32 v1, v13, v1, vcc
	v_lshrrev_b32_e32 v2, 16, v2
	v_and_or_b32 v13, v2, s6, v1
	v_and_or_b32 v1, v17, s7, v16
	v_cmp_ne_u32_e32 vcc, 0, v1
	v_cndmask_b32_e64 v1, 0, 1, vcc
	v_lshrrev_b32_e32 v2, 8, v17
	v_bfe_u32 v16, v17, 20, 11
	v_and_or_b32 v1, v2, s10, v1
	v_sub_u32_e32 v18, 0x3f1, v16
	v_or_b32_e32 v2, 0x1000, v1
	v_med3_i32 v18, v18, 0, 13
	v_lshrrev_b32_e32 v19, v18, v2
	v_lshlrev_b32_e32 v18, v18, v19
	v_cmp_ne_u32_e32 vcc, v18, v2
	v_cndmask_b32_e64 v2, 0, 1, vcc
	v_add_u32_e32 v16, 0xfffffc10, v16
	v_or_b32_e32 v2, v19, v2
	v_lshl_or_b32 v18, v16, 12, v1
	v_cmp_gt_i32_e32 vcc, 1, v16
	v_cndmask_b32_e32 v2, v18, v2, vcc
	v_and_b32_e32 v18, 7, v2
	v_cmp_lt_i32_e32 vcc, 5, v18
	v_cmp_eq_u32_e64 s[0:1], 3, v18
	v_lshrrev_b32_e32 v18, 16, v12
	v_lshrrev_b32_e32 v2, 2, v2
	s_or_b64 vcc, s[0:1], vcc
	v_addc_co_u32_e32 v2, vcc, 0, v2, vcc
	v_cmp_gt_i32_e32 vcc, 31, v16
	v_cndmask_b32_e32 v2, v0, v2, vcc
	v_cmp_ne_u32_e32 vcc, 0, v1
	v_cndmask_b32_e64 v1, 0, 1, vcc
	v_lshl_or_b32 v1, v1, 9, v0
	v_cmp_eq_u32_e32 vcc, s11, v16
	v_cndmask_b32_e32 v16, v2, v1, vcc
	v_lshrrev_b32_e32 v17, 16, v17
	v_and_or_b32 v16, v17, s6, v16
	v_and_b32_e32 v13, 0xffff, v13
	v_lshl_or_b32 v16, v16, 16, v13
	v_mov_b32_e32 v17, s4
	v_add_co_u32_e32 v13, vcc, s5, v14
	v_addc_co_u32_e32 v14, vcc, v15, v17, vcc
	global_store_dword v[13:14], v16, off
	s_waitcnt vmcnt(1)
	v_mul_f16_sdwa v19, v20, v18 dst_sel:DWORD dst_unused:UNUSED_PAD src0_sel:WORD_1 src1_sel:DWORD
	v_fma_f16 v19, v20, v12, v19
	v_cvt_f32_f16_e32 v19, v19
	v_mul_f16_sdwa v12, v20, v12 dst_sel:DWORD dst_unused:UNUSED_PAD src0_sel:WORD_1 src1_sel:DWORD
	v_fma_f16 v12, v20, v18, -v12
	v_cvt_f32_f16_e32 v12, v12
	v_cvt_f64_f32_e32 v[1:2], v19
	v_mul_f64 v[1:2], v[1:2], s[2:3]
	v_and_or_b32 v1, v2, s7, v1
	v_cmp_ne_u32_e32 vcc, 0, v1
	v_cndmask_b32_e64 v1, 0, 1, vcc
	v_lshrrev_b32_e32 v15, 8, v2
	v_bfe_u32 v16, v2, 20, 11
	v_and_or_b32 v1, v15, s10, v1
	v_sub_u32_e32 v17, 0x3f1, v16
	v_or_b32_e32 v15, 0x1000, v1
	v_med3_i32 v17, v17, 0, 13
	v_lshrrev_b32_e32 v19, v17, v15
	v_lshlrev_b32_e32 v17, v17, v19
	v_cmp_ne_u32_e32 vcc, v17, v15
	v_cndmask_b32_e64 v15, 0, 1, vcc
	v_or_b32_e32 v15, v19, v15
	buffer_load_dword v19, off, s[20:23], 0 offset:32 ; 4-byte Folded Reload
	v_add_u32_e32 v17, 0xfffffc10, v16
	v_lshl_or_b32 v16, v17, 12, v1
	v_cmp_gt_i32_e32 vcc, 1, v17
	v_cndmask_b32_e32 v15, v16, v15, vcc
	v_and_b32_e32 v16, 7, v15
	v_cmp_lt_i32_e32 vcc, 5, v16
	v_cmp_eq_u32_e64 s[0:1], 3, v16
	v_lshrrev_b32_e32 v18, 2, v15
	v_cvt_f64_f32_e32 v[15:16], v12
	s_or_b64 vcc, s[0:1], vcc
	v_addc_co_u32_e32 v12, vcc, 0, v18, vcc
	v_mul_f64 v[15:16], v[15:16], s[2:3]
	v_cmp_gt_i32_e32 vcc, 31, v17
	v_cndmask_b32_e32 v12, v0, v12, vcc
	v_cmp_ne_u32_e32 vcc, 0, v1
	v_cndmask_b32_e64 v1, 0, 1, vcc
	v_lshl_or_b32 v1, v1, 9, v0
	v_cmp_eq_u32_e32 vcc, s11, v17
	v_cndmask_b32_e32 v1, v12, v1, vcc
	v_lshrrev_b32_e32 v2, 16, v2
	v_and_or_b32 v12, v2, s6, v1
	v_and_or_b32 v1, v16, s7, v15
	v_cmp_ne_u32_e32 vcc, 0, v1
	v_cndmask_b32_e64 v1, 0, 1, vcc
	v_lshrrev_b32_e32 v2, 8, v16
	v_bfe_u32 v15, v16, 20, 11
	v_and_or_b32 v1, v2, s10, v1
	v_sub_u32_e32 v17, 0x3f1, v15
	v_or_b32_e32 v2, 0x1000, v1
	v_med3_i32 v17, v17, 0, 13
	v_lshrrev_b32_e32 v18, v17, v2
	v_lshlrev_b32_e32 v17, v17, v18
	v_cmp_ne_u32_e32 vcc, v17, v2
	v_cndmask_b32_e64 v2, 0, 1, vcc
	v_add_u32_e32 v15, 0xfffffc10, v15
	v_or_b32_e32 v2, v18, v2
	v_lshl_or_b32 v17, v15, 12, v1
	v_cmp_gt_i32_e32 vcc, 1, v15
	v_cndmask_b32_e32 v2, v17, v2, vcc
	v_and_b32_e32 v17, 7, v2
	v_cmp_lt_i32_e32 vcc, 5, v17
	v_cmp_eq_u32_e64 s[0:1], 3, v17
	v_lshrrev_b32_e32 v17, 16, v10
	v_lshrrev_b32_e32 v2, 2, v2
	s_or_b64 vcc, s[0:1], vcc
	v_addc_co_u32_e32 v2, vcc, 0, v2, vcc
	v_cmp_gt_i32_e32 vcc, 31, v15
	v_cndmask_b32_e32 v2, v0, v2, vcc
	v_cmp_ne_u32_e32 vcc, 0, v1
	v_cndmask_b32_e64 v1, 0, 1, vcc
	v_lshl_or_b32 v1, v1, 9, v0
	v_cmp_eq_u32_e32 vcc, s11, v15
	v_cndmask_b32_e32 v15, v2, v1, vcc
	v_lshrrev_b32_e32 v16, 16, v16
	v_and_or_b32 v15, v16, s6, v15
	v_and_b32_e32 v12, 0xffff, v12
	v_lshl_or_b32 v15, v15, 16, v12
	v_mov_b32_e32 v16, s4
	v_add_co_u32_e32 v12, vcc, s5, v13
	v_addc_co_u32_e32 v13, vcc, v14, v16, vcc
	global_store_dword v[12:13], v15, off
	s_waitcnt vmcnt(1)
	v_mul_f16_sdwa v18, v19, v17 dst_sel:DWORD dst_unused:UNUSED_PAD src0_sel:WORD_1 src1_sel:DWORD
	v_fma_f16 v18, v19, v10, v18
	v_cvt_f32_f16_e32 v18, v18
	v_mul_f16_sdwa v10, v19, v10 dst_sel:DWORD dst_unused:UNUSED_PAD src0_sel:WORD_1 src1_sel:DWORD
	v_fma_f16 v10, v19, v17, -v10
	v_cvt_f32_f16_e32 v10, v10
	v_cvt_f64_f32_e32 v[1:2], v18
	v_mul_f64 v[1:2], v[1:2], s[2:3]
	v_and_or_b32 v1, v2, s7, v1
	v_cmp_ne_u32_e32 vcc, 0, v1
	v_cndmask_b32_e64 v1, 0, 1, vcc
	v_lshrrev_b32_e32 v14, 8, v2
	v_bfe_u32 v15, v2, 20, 11
	v_and_or_b32 v1, v14, s10, v1
	v_sub_u32_e32 v16, 0x3f1, v15
	v_or_b32_e32 v14, 0x1000, v1
	v_med3_i32 v16, v16, 0, 13
	v_lshrrev_b32_e32 v18, v16, v14
	v_lshlrev_b32_e32 v16, v16, v18
	v_cmp_ne_u32_e32 vcc, v16, v14
	v_cndmask_b32_e64 v14, 0, 1, vcc
	v_or_b32_e32 v14, v18, v14
	buffer_load_dword v18, off, s[20:23], 0 offset:28 ; 4-byte Folded Reload
	v_add_u32_e32 v16, 0xfffffc10, v15
	v_lshl_or_b32 v15, v16, 12, v1
	v_cmp_gt_i32_e32 vcc, 1, v16
	v_cndmask_b32_e32 v14, v15, v14, vcc
	v_and_b32_e32 v15, 7, v14
	v_cmp_lt_i32_e32 vcc, 5, v15
	v_cmp_eq_u32_e64 s[0:1], 3, v15
	v_lshrrev_b32_e32 v17, 2, v14
	v_cvt_f64_f32_e32 v[14:15], v10
	s_or_b64 vcc, s[0:1], vcc
	v_addc_co_u32_e32 v10, vcc, 0, v17, vcc
	v_mul_f64 v[14:15], v[14:15], s[2:3]
	v_cmp_gt_i32_e32 vcc, 31, v16
	v_cndmask_b32_e32 v10, v0, v10, vcc
	v_cmp_ne_u32_e32 vcc, 0, v1
	v_cndmask_b32_e64 v1, 0, 1, vcc
	v_lshl_or_b32 v1, v1, 9, v0
	v_cmp_eq_u32_e32 vcc, s11, v16
	v_cndmask_b32_e32 v1, v10, v1, vcc
	v_lshrrev_b32_e32 v2, 16, v2
	v_and_or_b32 v10, v2, s6, v1
	v_and_or_b32 v1, v15, s7, v14
	v_cmp_ne_u32_e32 vcc, 0, v1
	v_cndmask_b32_e64 v1, 0, 1, vcc
	v_lshrrev_b32_e32 v2, 8, v15
	v_bfe_u32 v14, v15, 20, 11
	v_and_or_b32 v1, v2, s10, v1
	v_sub_u32_e32 v16, 0x3f1, v14
	v_or_b32_e32 v2, 0x1000, v1
	v_med3_i32 v16, v16, 0, 13
	v_lshrrev_b32_e32 v17, v16, v2
	v_lshlrev_b32_e32 v16, v16, v17
	v_cmp_ne_u32_e32 vcc, v16, v2
	v_cndmask_b32_e64 v2, 0, 1, vcc
	v_add_u32_e32 v14, 0xfffffc10, v14
	v_or_b32_e32 v2, v17, v2
	v_lshl_or_b32 v16, v14, 12, v1
	v_cmp_gt_i32_e32 vcc, 1, v14
	v_cndmask_b32_e32 v2, v16, v2, vcc
	v_and_b32_e32 v16, 7, v2
	v_cmp_lt_i32_e32 vcc, 5, v16
	v_cmp_eq_u32_e64 s[0:1], 3, v16
	v_lshrrev_b32_e32 v16, 16, v3
	v_lshrrev_b32_e32 v2, 2, v2
	s_or_b64 vcc, s[0:1], vcc
	v_addc_co_u32_e32 v2, vcc, 0, v2, vcc
	v_cmp_gt_i32_e32 vcc, 31, v14
	v_cndmask_b32_e32 v2, v0, v2, vcc
	v_cmp_ne_u32_e32 vcc, 0, v1
	v_cndmask_b32_e64 v1, 0, 1, vcc
	v_lshl_or_b32 v1, v1, 9, v0
	v_cmp_eq_u32_e32 vcc, s11, v14
	v_cndmask_b32_e32 v14, v2, v1, vcc
	v_lshrrev_b32_e32 v15, 16, v15
	v_and_or_b32 v14, v15, s6, v14
	v_and_b32_e32 v10, 0xffff, v10
	v_lshl_or_b32 v10, v14, 16, v10
	v_mov_b32_e32 v14, s4
	v_add_co_u32_e32 v12, vcc, s5, v12
	v_addc_co_u32_e32 v13, vcc, v13, v14, vcc
	global_store_dword v[12:13], v10, off
	s_waitcnt vmcnt(1)
	v_mul_f16_sdwa v17, v18, v16 dst_sel:DWORD dst_unused:UNUSED_PAD src0_sel:WORD_1 src1_sel:DWORD
	v_fma_f16 v17, v18, v3, v17
	v_cvt_f32_f16_e32 v17, v17
	v_mul_f16_sdwa v3, v18, v3 dst_sel:DWORD dst_unused:UNUSED_PAD src0_sel:WORD_1 src1_sel:DWORD
	v_fma_f16 v3, v18, v16, -v3
	v_cvt_f32_f16_e32 v3, v3
	v_cvt_f64_f32_e32 v[1:2], v17
	v_mul_f64 v[1:2], v[1:2], s[2:3]
	v_and_or_b32 v1, v2, s7, v1
	v_cmp_ne_u32_e32 vcc, 0, v1
	v_cndmask_b32_e64 v1, 0, 1, vcc
	v_lshrrev_b32_e32 v10, 8, v2
	v_bfe_u32 v14, v2, 20, 11
	v_and_or_b32 v1, v10, s10, v1
	v_sub_u32_e32 v15, 0x3f1, v14
	v_or_b32_e32 v10, 0x1000, v1
	v_med3_i32 v15, v15, 0, 13
	v_lshrrev_b32_e32 v17, v15, v10
	v_lshlrev_b32_e32 v15, v15, v17
	v_cmp_ne_u32_e32 vcc, v15, v10
	v_cndmask_b32_e64 v10, 0, 1, vcc
	v_or_b32_e32 v10, v17, v10
	v_add_u32_e32 v17, 0xfffffc10, v14
	v_lshl_or_b32 v14, v17, 12, v1
	v_cmp_gt_i32_e32 vcc, 1, v17
	v_cndmask_b32_e32 v10, v14, v10, vcc
	v_and_b32_e32 v14, 7, v10
	v_cmp_lt_i32_e32 vcc, 5, v14
	v_cmp_eq_u32_e64 s[0:1], 3, v14
	v_lshrrev_b32_e32 v10, 2, v10
	s_or_b64 vcc, s[0:1], vcc
	v_cvt_f64_f32_e32 v[14:15], v3
	v_addc_co_u32_e32 v3, vcc, 0, v10, vcc
	v_cmp_gt_i32_e32 vcc, 31, v17
	v_cndmask_b32_e32 v3, v0, v3, vcc
	v_cmp_ne_u32_e32 vcc, 0, v1
	v_cndmask_b32_e64 v1, 0, 1, vcc
	v_cmp_eq_u32_e32 vcc, s11, v17
	buffer_load_dword v17, off, s[20:23], 0 offset:24 ; 4-byte Folded Reload
	v_mul_f64 v[14:15], v[14:15], s[2:3]
	v_lshl_or_b32 v1, v1, 9, v0
	v_cndmask_b32_e32 v1, v3, v1, vcc
	v_lshrrev_b32_e32 v2, 16, v2
	v_and_or_b32 v3, v2, s6, v1
	v_and_b32_e32 v3, 0xffff, v3
	v_and_or_b32 v1, v15, s7, v14
	v_cmp_ne_u32_e32 vcc, 0, v1
	v_cndmask_b32_e64 v1, 0, 1, vcc
	v_lshrrev_b32_e32 v2, 8, v15
	v_bfe_u32 v10, v15, 20, 11
	v_and_or_b32 v1, v2, s10, v1
	v_sub_u32_e32 v14, 0x3f1, v10
	v_or_b32_e32 v2, 0x1000, v1
	v_med3_i32 v14, v14, 0, 13
	v_lshrrev_b32_e32 v16, v14, v2
	v_lshlrev_b32_e32 v14, v14, v16
	v_cmp_ne_u32_e32 vcc, v14, v2
	v_cndmask_b32_e64 v2, 0, 1, vcc
	v_add_u32_e32 v10, 0xfffffc10, v10
	v_or_b32_e32 v2, v16, v2
	v_lshl_or_b32 v14, v10, 12, v1
	v_cmp_gt_i32_e32 vcc, 1, v10
	v_cndmask_b32_e32 v2, v14, v2, vcc
	v_and_b32_e32 v14, 7, v2
	v_cmp_lt_i32_e32 vcc, 5, v14
	v_cmp_eq_u32_e64 s[0:1], 3, v14
	v_lshrrev_b32_e32 v14, 16, v9
	v_lshrrev_b32_e32 v2, 2, v2
	s_or_b64 vcc, s[0:1], vcc
	v_addc_co_u32_e32 v2, vcc, 0, v2, vcc
	v_cmp_gt_i32_e32 vcc, 31, v10
	v_cndmask_b32_e32 v2, v0, v2, vcc
	v_cmp_ne_u32_e32 vcc, 0, v1
	v_cndmask_b32_e64 v1, 0, 1, vcc
	v_lshl_or_b32 v1, v1, 9, v0
	v_cmp_eq_u32_e32 vcc, s11, v10
	v_cndmask_b32_e32 v10, v2, v1, vcc
	v_lshrrev_b32_e32 v15, 16, v15
	v_and_or_b32 v10, v15, s6, v10
	v_lshl_or_b32 v3, v10, 16, v3
	v_mov_b32_e32 v10, s9
	v_add_co_u32_e32 v12, vcc, s8, v12
	v_addc_co_u32_e32 v13, vcc, v13, v10, vcc
	global_store_dword v[12:13], v3, off
	s_waitcnt vmcnt(1)
	v_mul_f16_sdwa v16, v17, v14 dst_sel:DWORD dst_unused:UNUSED_PAD src0_sel:WORD_1 src1_sel:DWORD
	v_fma_f16 v16, v17, v9, v16
	v_cvt_f32_f16_e32 v16, v16
	v_mul_f16_sdwa v9, v17, v9 dst_sel:DWORD dst_unused:UNUSED_PAD src0_sel:WORD_1 src1_sel:DWORD
	v_fma_f16 v9, v17, v14, -v9
	v_cvt_f32_f16_e32 v9, v9
	v_cvt_f64_f32_e32 v[1:2], v16
	v_mul_f64 v[1:2], v[1:2], s[2:3]
	v_and_or_b32 v1, v2, s7, v1
	v_cmp_ne_u32_e32 vcc, 0, v1
	v_cndmask_b32_e64 v1, 0, 1, vcc
	v_lshrrev_b32_e32 v3, 8, v2
	v_bfe_u32 v10, v2, 20, 11
	v_and_or_b32 v1, v3, s10, v1
	v_sub_u32_e32 v15, 0x3f1, v10
	v_or_b32_e32 v3, 0x1000, v1
	v_med3_i32 v15, v15, 0, 13
	v_lshrrev_b32_e32 v16, v15, v3
	v_lshlrev_b32_e32 v15, v15, v16
	v_cmp_ne_u32_e32 vcc, v15, v3
	v_cndmask_b32_e64 v3, 0, 1, vcc
	v_or_b32_e32 v3, v16, v3
	buffer_load_dword v16, off, s[20:23], 0 offset:20 ; 4-byte Folded Reload
	v_add_u32_e32 v15, 0xfffffc10, v10
	v_lshl_or_b32 v10, v15, 12, v1
	v_cmp_gt_i32_e32 vcc, 1, v15
	v_cndmask_b32_e32 v3, v10, v3, vcc
	v_and_b32_e32 v10, 7, v3
	v_cmp_lt_i32_e32 vcc, 5, v10
	v_cmp_eq_u32_e64 s[0:1], 3, v10
	v_cvt_f64_f32_e32 v[9:10], v9
	v_lshrrev_b32_e32 v3, 2, v3
	s_or_b64 vcc, s[0:1], vcc
	v_addc_co_u32_e32 v3, vcc, 0, v3, vcc
	v_mul_f64 v[9:10], v[9:10], s[2:3]
	v_cmp_gt_i32_e32 vcc, 31, v15
	v_cndmask_b32_e32 v3, v0, v3, vcc
	v_cmp_ne_u32_e32 vcc, 0, v1
	v_cndmask_b32_e64 v1, 0, 1, vcc
	v_lshl_or_b32 v1, v1, 9, v0
	v_cmp_eq_u32_e32 vcc, s11, v15
	v_cndmask_b32_e32 v1, v3, v1, vcc
	v_lshrrev_b32_e32 v2, 16, v2
	v_and_or_b32 v3, v2, s6, v1
	v_and_or_b32 v1, v10, s7, v9
	v_cmp_ne_u32_e32 vcc, 0, v1
	v_cndmask_b32_e64 v1, 0, 1, vcc
	v_lshrrev_b32_e32 v2, 8, v10
	v_bfe_u32 v9, v10, 20, 11
	v_and_or_b32 v1, v2, s10, v1
	v_sub_u32_e32 v14, 0x3f1, v9
	v_or_b32_e32 v2, 0x1000, v1
	v_med3_i32 v14, v14, 0, 13
	v_lshrrev_b32_e32 v15, v14, v2
	v_lshlrev_b32_e32 v14, v14, v15
	v_cmp_ne_u32_e32 vcc, v14, v2
	v_cndmask_b32_e64 v2, 0, 1, vcc
	v_add_u32_e32 v9, 0xfffffc10, v9
	v_or_b32_e32 v2, v15, v2
	v_lshl_or_b32 v14, v9, 12, v1
	v_cmp_gt_i32_e32 vcc, 1, v9
	v_cndmask_b32_e32 v2, v14, v2, vcc
	v_and_b32_e32 v14, 7, v2
	v_cmp_lt_i32_e32 vcc, 5, v14
	v_cmp_eq_u32_e64 s[0:1], 3, v14
	s_waitcnt lgkmcnt(1)
	v_lshrrev_b32_e32 v14, 16, v11
	v_lshrrev_b32_e32 v2, 2, v2
	s_or_b64 vcc, s[0:1], vcc
	v_addc_co_u32_e32 v2, vcc, 0, v2, vcc
	v_cmp_gt_i32_e32 vcc, 31, v9
	v_cndmask_b32_e32 v2, v0, v2, vcc
	v_cmp_ne_u32_e32 vcc, 0, v1
	v_cndmask_b32_e64 v1, 0, 1, vcc
	v_lshl_or_b32 v1, v1, 9, v0
	v_cmp_eq_u32_e32 vcc, s11, v9
	v_cndmask_b32_e32 v9, v2, v1, vcc
	v_lshrrev_b32_e32 v10, 16, v10
	v_and_or_b32 v9, v10, s6, v9
	v_and_b32_e32 v3, 0xffff, v3
	v_lshl_or_b32 v3, v9, 16, v3
	v_mov_b32_e32 v10, s4
	v_add_co_u32_e32 v9, vcc, s5, v12
	v_addc_co_u32_e32 v10, vcc, v13, v10, vcc
	global_store_dword v[9:10], v3, off
	s_waitcnt vmcnt(1)
	v_mul_f16_sdwa v15, v16, v14 dst_sel:DWORD dst_unused:UNUSED_PAD src0_sel:WORD_1 src1_sel:DWORD
	v_fma_f16 v15, v16, v11, v15
	v_cvt_f32_f16_e32 v15, v15
	v_mul_f16_sdwa v11, v16, v11 dst_sel:DWORD dst_unused:UNUSED_PAD src0_sel:WORD_1 src1_sel:DWORD
	v_fma_f16 v11, v16, v14, -v11
	v_cvt_f32_f16_e32 v11, v11
	v_cvt_f64_f32_e32 v[1:2], v15
	v_mul_f64 v[1:2], v[1:2], s[2:3]
	v_and_or_b32 v1, v2, s7, v1
	v_cmp_ne_u32_e32 vcc, 0, v1
	v_cndmask_b32_e64 v1, 0, 1, vcc
	v_lshrrev_b32_e32 v3, 8, v2
	v_bfe_u32 v12, v2, 20, 11
	v_and_or_b32 v1, v3, s10, v1
	v_sub_u32_e32 v13, 0x3f1, v12
	v_or_b32_e32 v3, 0x1000, v1
	v_med3_i32 v13, v13, 0, 13
	v_lshrrev_b32_e32 v15, v13, v3
	v_lshlrev_b32_e32 v13, v13, v15
	v_cmp_ne_u32_e32 vcc, v13, v3
	v_cndmask_b32_e64 v3, 0, 1, vcc
	v_or_b32_e32 v3, v15, v3
	buffer_load_dword v15, off, s[20:23], 0 offset:16 ; 4-byte Folded Reload
	v_add_u32_e32 v13, 0xfffffc10, v12
	v_lshl_or_b32 v12, v13, 12, v1
	v_cmp_gt_i32_e32 vcc, 1, v13
	v_cndmask_b32_e32 v3, v12, v3, vcc
	v_and_b32_e32 v12, 7, v3
	v_cmp_lt_i32_e32 vcc, 5, v12
	v_cmp_eq_u32_e64 s[0:1], 3, v12
	v_cvt_f64_f32_e32 v[11:12], v11
	v_lshrrev_b32_e32 v3, 2, v3
	s_or_b64 vcc, s[0:1], vcc
	v_addc_co_u32_e32 v3, vcc, 0, v3, vcc
	v_mul_f64 v[11:12], v[11:12], s[2:3]
	v_cmp_gt_i32_e32 vcc, 31, v13
	v_cndmask_b32_e32 v3, v0, v3, vcc
	v_cmp_ne_u32_e32 vcc, 0, v1
	v_cndmask_b32_e64 v1, 0, 1, vcc
	v_lshl_or_b32 v1, v1, 9, v0
	v_cmp_eq_u32_e32 vcc, s11, v13
	v_cndmask_b32_e32 v1, v3, v1, vcc
	v_lshrrev_b32_e32 v2, 16, v2
	v_and_or_b32 v3, v2, s6, v1
	v_and_or_b32 v1, v12, s7, v11
	v_cmp_ne_u32_e32 vcc, 0, v1
	v_cndmask_b32_e64 v1, 0, 1, vcc
	v_lshrrev_b32_e32 v2, 8, v12
	v_bfe_u32 v11, v12, 20, 11
	v_and_or_b32 v1, v2, s10, v1
	v_sub_u32_e32 v13, 0x3f1, v11
	v_or_b32_e32 v2, 0x1000, v1
	v_med3_i32 v13, v13, 0, 13
	v_lshrrev_b32_e32 v14, v13, v2
	v_lshlrev_b32_e32 v13, v13, v14
	v_cmp_ne_u32_e32 vcc, v13, v2
	v_cndmask_b32_e64 v2, 0, 1, vcc
	v_add_u32_e32 v11, 0xfffffc10, v11
	v_or_b32_e32 v2, v14, v2
	v_lshl_or_b32 v13, v11, 12, v1
	v_cmp_gt_i32_e32 vcc, 1, v11
	v_cndmask_b32_e32 v2, v13, v2, vcc
	v_and_b32_e32 v13, 7, v2
	v_cmp_lt_i32_e32 vcc, 5, v13
	v_cmp_eq_u32_e64 s[0:1], 3, v13
	v_lshrrev_b32_e32 v13, 16, v7
	v_lshrrev_b32_e32 v2, 2, v2
	s_or_b64 vcc, s[0:1], vcc
	v_addc_co_u32_e32 v2, vcc, 0, v2, vcc
	v_cmp_gt_i32_e32 vcc, 31, v11
	v_cndmask_b32_e32 v2, v0, v2, vcc
	v_cmp_ne_u32_e32 vcc, 0, v1
	v_cndmask_b32_e64 v1, 0, 1, vcc
	v_lshl_or_b32 v1, v1, 9, v0
	v_cmp_eq_u32_e32 vcc, s11, v11
	v_cndmask_b32_e32 v11, v2, v1, vcc
	v_lshrrev_b32_e32 v12, 16, v12
	v_and_or_b32 v11, v12, s6, v11
	v_and_b32_e32 v3, 0xffff, v3
	v_lshl_or_b32 v3, v11, 16, v3
	v_mov_b32_e32 v11, s4
	v_add_co_u32_e32 v9, vcc, s5, v9
	v_addc_co_u32_e32 v10, vcc, v10, v11, vcc
	global_store_dword v[9:10], v3, off
	s_waitcnt vmcnt(1)
	v_mul_f16_sdwa v14, v15, v13 dst_sel:DWORD dst_unused:UNUSED_PAD src0_sel:WORD_1 src1_sel:DWORD
	v_fma_f16 v14, v15, v7, v14
	v_cvt_f32_f16_e32 v14, v14
	v_mul_f16_sdwa v7, v15, v7 dst_sel:DWORD dst_unused:UNUSED_PAD src0_sel:WORD_1 src1_sel:DWORD
	v_fma_f16 v7, v15, v13, -v7
	v_cvt_f32_f16_e32 v7, v7
	v_cvt_f64_f32_e32 v[1:2], v14
	v_mul_f64 v[1:2], v[1:2], s[2:3]
	v_and_or_b32 v1, v2, s7, v1
	v_cmp_ne_u32_e32 vcc, 0, v1
	v_cndmask_b32_e64 v1, 0, 1, vcc
	v_lshrrev_b32_e32 v3, 8, v2
	v_bfe_u32 v11, v2, 20, 11
	v_and_or_b32 v1, v3, s10, v1
	v_sub_u32_e32 v12, 0x3f1, v11
	v_or_b32_e32 v3, 0x1000, v1
	v_med3_i32 v12, v12, 0, 13
	v_lshrrev_b32_e32 v14, v12, v3
	v_lshlrev_b32_e32 v12, v12, v14
	v_cmp_ne_u32_e32 vcc, v12, v3
	v_cndmask_b32_e64 v3, 0, 1, vcc
	v_or_b32_e32 v3, v14, v3
	v_add_u32_e32 v14, 0xfffffc10, v11
	v_lshl_or_b32 v11, v14, 12, v1
	v_cmp_gt_i32_e32 vcc, 1, v14
	v_cndmask_b32_e32 v3, v11, v3, vcc
	v_and_b32_e32 v11, 7, v3
	v_cmp_lt_i32_e32 vcc, 5, v11
	v_cmp_eq_u32_e64 s[0:1], 3, v11
	v_lshrrev_b32_e32 v3, 2, v3
	s_or_b64 vcc, s[0:1], vcc
	v_addc_co_u32_e32 v3, vcc, 0, v3, vcc
	v_cmp_gt_i32_e32 vcc, 31, v14
	v_cndmask_b32_e32 v3, v0, v3, vcc
	v_cmp_ne_u32_e32 vcc, 0, v1
	v_cndmask_b32_e64 v1, 0, 1, vcc
	v_cmp_eq_u32_e32 vcc, s11, v14
	buffer_load_dword v14, off, s[20:23], 0 offset:12 ; 4-byte Folded Reload
	v_cvt_f64_f32_e32 v[11:12], v7
	v_lshl_or_b32 v1, v1, 9, v0
	v_cndmask_b32_e32 v1, v3, v1, vcc
	v_lshrrev_b32_e32 v2, 16, v2
	v_mul_f64 v[11:12], v[11:12], s[2:3]
	v_and_or_b32 v3, v2, s6, v1
	v_and_b32_e32 v3, 0xffff, v3
	v_and_or_b32 v1, v12, s7, v11
	v_cmp_ne_u32_e32 vcc, 0, v1
	v_cndmask_b32_e64 v1, 0, 1, vcc
	v_lshrrev_b32_e32 v2, 8, v12
	v_bfe_u32 v7, v12, 20, 11
	v_and_or_b32 v1, v2, s10, v1
	v_sub_u32_e32 v11, 0x3f1, v7
	v_or_b32_e32 v2, 0x1000, v1
	v_med3_i32 v11, v11, 0, 13
	v_lshrrev_b32_e32 v13, v11, v2
	v_lshlrev_b32_e32 v11, v11, v13
	v_cmp_ne_u32_e32 vcc, v11, v2
	v_cndmask_b32_e64 v2, 0, 1, vcc
	v_add_u32_e32 v7, 0xfffffc10, v7
	v_or_b32_e32 v2, v13, v2
	v_lshl_or_b32 v11, v7, 12, v1
	v_cmp_gt_i32_e32 vcc, 1, v7
	v_cndmask_b32_e32 v2, v11, v2, vcc
	v_and_b32_e32 v11, 7, v2
	v_cmp_lt_i32_e32 vcc, 5, v11
	v_cmp_eq_u32_e64 s[0:1], 3, v11
	v_lshrrev_b32_e32 v11, 16, v5
	v_lshrrev_b32_e32 v2, 2, v2
	s_or_b64 vcc, s[0:1], vcc
	v_addc_co_u32_e32 v2, vcc, 0, v2, vcc
	v_cmp_gt_i32_e32 vcc, 31, v7
	v_cndmask_b32_e32 v2, v0, v2, vcc
	v_cmp_ne_u32_e32 vcc, 0, v1
	v_cndmask_b32_e64 v1, 0, 1, vcc
	v_lshl_or_b32 v1, v1, 9, v0
	v_cmp_eq_u32_e32 vcc, s11, v7
	v_cndmask_b32_e32 v7, v2, v1, vcc
	v_lshrrev_b32_e32 v12, 16, v12
	v_and_or_b32 v7, v12, s6, v7
	v_lshl_or_b32 v3, v7, 16, v3
	v_mov_b32_e32 v7, s4
	v_add_co_u32_e32 v9, vcc, s5, v9
	v_addc_co_u32_e32 v10, vcc, v10, v7, vcc
	global_store_dword v[9:10], v3, off
	s_waitcnt vmcnt(1)
	v_mul_f16_sdwa v13, v14, v11 dst_sel:DWORD dst_unused:UNUSED_PAD src0_sel:WORD_1 src1_sel:DWORD
	v_fma_f16 v13, v14, v5, v13
	v_cvt_f32_f16_e32 v13, v13
	v_mul_f16_sdwa v5, v14, v5 dst_sel:DWORD dst_unused:UNUSED_PAD src0_sel:WORD_1 src1_sel:DWORD
	v_fma_f16 v5, v14, v11, -v5
	v_cvt_f32_f16_e32 v5, v5
	v_cvt_f64_f32_e32 v[1:2], v13
	v_mul_f64 v[1:2], v[1:2], s[2:3]
	v_and_or_b32 v1, v2, s7, v1
	v_cmp_ne_u32_e32 vcc, 0, v1
	v_cndmask_b32_e64 v1, 0, 1, vcc
	v_lshrrev_b32_e32 v3, 8, v2
	v_bfe_u32 v7, v2, 20, 11
	v_and_or_b32 v1, v3, s10, v1
	v_sub_u32_e32 v12, 0x3f1, v7
	v_or_b32_e32 v3, 0x1000, v1
	v_med3_i32 v12, v12, 0, 13
	v_lshrrev_b32_e32 v13, v12, v3
	v_lshlrev_b32_e32 v12, v12, v13
	v_cmp_ne_u32_e32 vcc, v12, v3
	v_cndmask_b32_e64 v3, 0, 1, vcc
	v_or_b32_e32 v3, v13, v3
	buffer_load_dword v13, off, s[20:23], 0 offset:8 ; 4-byte Folded Reload
	v_add_u32_e32 v7, 0xfffffc10, v7
	v_lshl_or_b32 v12, v7, 12, v1
	v_cmp_gt_i32_e32 vcc, 1, v7
	v_cndmask_b32_e32 v3, v12, v3, vcc
	v_and_b32_e32 v12, 7, v3
	v_cmp_lt_i32_e32 vcc, 5, v12
	v_cmp_eq_u32_e64 s[0:1], 3, v12
	v_cvt_f64_f32_e32 v[11:12], v5
	v_lshrrev_b32_e32 v3, 2, v3
	s_or_b64 vcc, s[0:1], vcc
	v_addc_co_u32_e32 v3, vcc, 0, v3, vcc
	v_mul_f64 v[11:12], v[11:12], s[2:3]
	v_cmp_gt_i32_e32 vcc, 31, v7
	v_cndmask_b32_e32 v3, v0, v3, vcc
	v_cmp_ne_u32_e32 vcc, 0, v1
	v_cndmask_b32_e64 v1, 0, 1, vcc
	v_lshl_or_b32 v1, v1, 9, v0
	v_cmp_eq_u32_e32 vcc, s11, v7
	v_cndmask_b32_e32 v1, v3, v1, vcc
	v_lshrrev_b32_e32 v2, 16, v2
	v_and_or_b32 v3, v2, s6, v1
	v_and_or_b32 v1, v12, s7, v11
	v_cmp_ne_u32_e32 vcc, 0, v1
	v_cndmask_b32_e64 v1, 0, 1, vcc
	v_lshrrev_b32_e32 v2, 8, v12
	v_bfe_u32 v5, v12, 20, 11
	v_and_or_b32 v1, v2, s10, v1
	v_sub_u32_e32 v7, 0x3f1, v5
	v_or_b32_e32 v2, 0x1000, v1
	v_med3_i32 v7, v7, 0, 13
	v_lshrrev_b32_e32 v11, v7, v2
	v_lshlrev_b32_e32 v7, v7, v11
	v_cmp_ne_u32_e32 vcc, v7, v2
	v_cndmask_b32_e64 v2, 0, 1, vcc
	v_add_u32_e32 v5, 0xfffffc10, v5
	v_or_b32_e32 v2, v11, v2
	v_lshl_or_b32 v7, v5, 12, v1
	v_cmp_gt_i32_e32 vcc, 1, v5
	v_cndmask_b32_e32 v2, v7, v2, vcc
	v_and_b32_e32 v7, 7, v2
	v_cmp_lt_i32_e32 vcc, 5, v7
	v_cmp_eq_u32_e64 s[0:1], 3, v7
	v_lshrrev_b32_e32 v7, 16, v6
	v_lshrrev_b32_e32 v2, 2, v2
	s_or_b64 vcc, s[0:1], vcc
	v_addc_co_u32_e32 v2, vcc, 0, v2, vcc
	v_cmp_gt_i32_e32 vcc, 31, v5
	v_cndmask_b32_e32 v2, v0, v2, vcc
	v_cmp_ne_u32_e32 vcc, 0, v1
	v_cndmask_b32_e64 v1, 0, 1, vcc
	v_lshl_or_b32 v1, v1, 9, v0
	v_cmp_eq_u32_e32 vcc, s11, v5
	v_cndmask_b32_e32 v5, v2, v1, vcc
	v_and_b32_e32 v3, 0xffff, v3
	v_add_co_u32_e32 v9, vcc, s8, v9
	s_waitcnt vmcnt(0)
	v_mul_f16_sdwa v11, v13, v7 dst_sel:DWORD dst_unused:UNUSED_PAD src0_sel:WORD_1 src1_sel:DWORD
	v_fma_f16 v11, v13, v6, v11
	v_cvt_f32_f16_e32 v11, v11
	v_mul_f16_sdwa v6, v13, v6 dst_sel:DWORD dst_unused:UNUSED_PAD src0_sel:WORD_1 src1_sel:DWORD
	v_fma_f16 v6, v13, v7, -v6
	v_cvt_f32_f16_e32 v6, v6
	v_cvt_f64_f32_e32 v[1:2], v11
	v_lshrrev_b32_e32 v11, 16, v12
	v_and_or_b32 v5, v11, s6, v5
	v_lshl_or_b32 v3, v5, 16, v3
	v_mul_f64 v[1:2], v[1:2], s[2:3]
	v_mov_b32_e32 v5, s9
	v_addc_co_u32_e32 v10, vcc, v10, v5, vcc
	global_store_dword v[9:10], v3, off
	v_and_or_b32 v1, v2, s7, v1
	v_cmp_ne_u32_e32 vcc, 0, v1
	v_cndmask_b32_e64 v1, 0, 1, vcc
	v_lshrrev_b32_e32 v3, 8, v2
	v_bfe_u32 v5, v2, 20, 11
	v_and_or_b32 v1, v3, s10, v1
	v_sub_u32_e32 v11, 0x3f1, v5
	v_or_b32_e32 v3, 0x1000, v1
	v_med3_i32 v11, v11, 0, 13
	v_lshrrev_b32_e32 v12, v11, v3
	v_lshlrev_b32_e32 v11, v11, v12
	v_cmp_ne_u32_e32 vcc, v11, v3
	v_cndmask_b32_e64 v3, 0, 1, vcc
	v_or_b32_e32 v3, v12, v3
	buffer_load_dword v12, off, s[20:23], 0 offset:4 ; 4-byte Folded Reload
	v_add_u32_e32 v11, 0xfffffc10, v5
	v_lshl_or_b32 v5, v11, 12, v1
	v_cmp_gt_i32_e32 vcc, 1, v11
	v_cndmask_b32_e32 v3, v5, v3, vcc
	v_and_b32_e32 v5, 7, v3
	v_cmp_lt_i32_e32 vcc, 5, v5
	v_cmp_eq_u32_e64 s[0:1], 3, v5
	v_cvt_f64_f32_e32 v[5:6], v6
	v_lshrrev_b32_e32 v3, 2, v3
	s_or_b64 vcc, s[0:1], vcc
	v_addc_co_u32_e32 v3, vcc, 0, v3, vcc
	v_mul_f64 v[5:6], v[5:6], s[2:3]
	v_cmp_gt_i32_e32 vcc, 31, v11
	v_cndmask_b32_e32 v3, v0, v3, vcc
	v_cmp_ne_u32_e32 vcc, 0, v1
	v_cndmask_b32_e64 v1, 0, 1, vcc
	v_lshl_or_b32 v1, v1, 9, v0
	v_cmp_eq_u32_e32 vcc, s11, v11
	v_cndmask_b32_e32 v1, v3, v1, vcc
	v_lshrrev_b32_e32 v2, 16, v2
	v_and_or_b32 v3, v2, s6, v1
	v_and_or_b32 v1, v6, s7, v5
	v_cmp_ne_u32_e32 vcc, 0, v1
	v_cndmask_b32_e64 v1, 0, 1, vcc
	v_lshrrev_b32_e32 v2, 8, v6
	v_bfe_u32 v5, v6, 20, 11
	v_and_or_b32 v1, v2, s10, v1
	v_sub_u32_e32 v7, 0x3f1, v5
	v_or_b32_e32 v2, 0x1000, v1
	v_med3_i32 v7, v7, 0, 13
	v_lshrrev_b32_e32 v11, v7, v2
	v_lshlrev_b32_e32 v7, v7, v11
	v_cmp_ne_u32_e32 vcc, v7, v2
	v_cndmask_b32_e64 v2, 0, 1, vcc
	v_add_u32_e32 v5, 0xfffffc10, v5
	v_or_b32_e32 v2, v11, v2
	v_lshl_or_b32 v7, v5, 12, v1
	v_cmp_gt_i32_e32 vcc, 1, v5
	v_cndmask_b32_e32 v2, v7, v2, vcc
	v_and_b32_e32 v7, 7, v2
	v_cmp_lt_i32_e32 vcc, 5, v7
	v_cmp_eq_u32_e64 s[0:1], 3, v7
	s_waitcnt lgkmcnt(0)
	v_lshrrev_b32_e32 v7, 16, v8
	v_lshrrev_b32_e32 v2, 2, v2
	s_or_b64 vcc, s[0:1], vcc
	v_addc_co_u32_e32 v2, vcc, 0, v2, vcc
	v_cmp_gt_i32_e32 vcc, 31, v5
	v_cndmask_b32_e32 v2, v0, v2, vcc
	v_cmp_ne_u32_e32 vcc, 0, v1
	v_cndmask_b32_e64 v1, 0, 1, vcc
	v_lshl_or_b32 v1, v1, 9, v0
	v_cmp_eq_u32_e32 vcc, s11, v5
	v_cndmask_b32_e32 v5, v2, v1, vcc
	v_lshrrev_b32_e32 v6, 16, v6
	v_and_or_b32 v5, v6, s6, v5
	v_and_b32_e32 v3, 0xffff, v3
	v_lshl_or_b32 v3, v5, 16, v3
	v_mov_b32_e32 v6, s4
	v_add_co_u32_e32 v5, vcc, s5, v9
	v_addc_co_u32_e32 v6, vcc, v10, v6, vcc
	global_store_dword v[5:6], v3, off
	s_waitcnt vmcnt(1)
	v_mul_f16_sdwa v11, v12, v7 dst_sel:DWORD dst_unused:UNUSED_PAD src0_sel:WORD_1 src1_sel:DWORD
	v_fma_f16 v11, v12, v8, v11
	v_cvt_f32_f16_e32 v11, v11
	v_mul_f16_sdwa v8, v12, v8 dst_sel:DWORD dst_unused:UNUSED_PAD src0_sel:WORD_1 src1_sel:DWORD
	v_fma_f16 v7, v12, v7, -v8
	v_cvt_f32_f16_e32 v7, v7
	v_cvt_f64_f32_e32 v[1:2], v11
	v_cvt_f64_f32_e32 v[7:8], v7
	v_mul_f64 v[1:2], v[1:2], s[2:3]
	v_mul_f64 v[7:8], v[7:8], s[2:3]
	v_and_or_b32 v1, v2, s7, v1
	v_cmp_ne_u32_e32 vcc, 0, v1
	v_cndmask_b32_e64 v1, 0, 1, vcc
	v_lshrrev_b32_e32 v3, 8, v2
	v_bfe_u32 v9, v2, 20, 11
	v_and_or_b32 v1, v3, s10, v1
	v_sub_u32_e32 v10, 0x3f1, v9
	v_or_b32_e32 v3, 0x1000, v1
	v_med3_i32 v10, v10, 0, 13
	v_lshrrev_b32_e32 v11, v10, v3
	v_lshlrev_b32_e32 v10, v10, v11
	v_cmp_ne_u32_e32 vcc, v10, v3
	v_cndmask_b32_e64 v3, 0, 1, vcc
	v_or_b32_e32 v3, v11, v3
	buffer_load_dword v11, off, s[20:23], 0 ; 4-byte Folded Reload
	v_add_u32_e32 v9, 0xfffffc10, v9
	v_lshl_or_b32 v10, v9, 12, v1
	v_cmp_gt_i32_e32 vcc, 1, v9
	v_cndmask_b32_e32 v3, v10, v3, vcc
	v_and_b32_e32 v10, 7, v3
	v_cmp_lt_i32_e32 vcc, 5, v10
	v_cmp_eq_u32_e64 s[0:1], 3, v10
	v_lshrrev_b32_e32 v3, 2, v3
	s_or_b64 vcc, s[0:1], vcc
	v_addc_co_u32_e32 v3, vcc, 0, v3, vcc
	v_cmp_gt_i32_e32 vcc, 31, v9
	v_cndmask_b32_e32 v3, v0, v3, vcc
	v_cmp_ne_u32_e32 vcc, 0, v1
	v_cndmask_b32_e64 v1, 0, 1, vcc
	v_lshl_or_b32 v1, v1, 9, v0
	v_cmp_eq_u32_e32 vcc, s11, v9
	v_cndmask_b32_e32 v1, v3, v1, vcc
	v_lshrrev_b32_e32 v2, 16, v2
	v_and_or_b32 v3, v2, s6, v1
	v_and_or_b32 v1, v8, s7, v7
	v_cmp_ne_u32_e32 vcc, 0, v1
	v_cndmask_b32_e64 v1, 0, 1, vcc
	v_lshrrev_b32_e32 v2, 8, v8
	v_bfe_u32 v7, v8, 20, 11
	v_and_or_b32 v1, v2, s10, v1
	v_sub_u32_e32 v9, 0x3f1, v7
	v_or_b32_e32 v2, 0x1000, v1
	v_med3_i32 v9, v9, 0, 13
	v_lshrrev_b32_e32 v10, v9, v2
	v_lshlrev_b32_e32 v9, v9, v10
	v_cmp_ne_u32_e32 vcc, v9, v2
	v_cndmask_b32_e64 v2, 0, 1, vcc
	v_add_u32_e32 v7, 0xfffffc10, v7
	v_or_b32_e32 v2, v10, v2
	v_lshl_or_b32 v9, v7, 12, v1
	v_cmp_gt_i32_e32 vcc, 1, v7
	v_cndmask_b32_e32 v2, v9, v2, vcc
	v_and_b32_e32 v9, 7, v2
	v_cmp_lt_i32_e32 vcc, 5, v9
	v_cmp_eq_u32_e64 s[0:1], 3, v9
	v_lshrrev_b32_e32 v9, 16, v4
	v_lshrrev_b32_e32 v2, 2, v2
	s_or_b64 vcc, s[0:1], vcc
	v_addc_co_u32_e32 v2, vcc, 0, v2, vcc
	v_cmp_gt_i32_e32 vcc, 31, v7
	v_cndmask_b32_e32 v2, v0, v2, vcc
	v_cmp_ne_u32_e32 vcc, 0, v1
	v_cndmask_b32_e64 v1, 0, 1, vcc
	v_lshl_or_b32 v1, v1, 9, v0
	v_cmp_eq_u32_e32 vcc, s11, v7
	v_cndmask_b32_e32 v7, v2, v1, vcc
	v_lshrrev_b32_e32 v8, 16, v8
	v_and_or_b32 v7, v8, s6, v7
	v_and_b32_e32 v3, 0xffff, v3
	v_lshl_or_b32 v3, v7, 16, v3
	v_mov_b32_e32 v7, s4
	v_add_co_u32_e32 v5, vcc, s5, v5
	v_addc_co_u32_e32 v6, vcc, v6, v7, vcc
	global_store_dword v[5:6], v3, off
	s_waitcnt vmcnt(1)
	v_mul_f16_sdwa v10, v11, v9 dst_sel:DWORD dst_unused:UNUSED_PAD src0_sel:WORD_1 src1_sel:DWORD
	v_fma_f16 v10, v11, v4, v10
	v_cvt_f32_f16_e32 v10, v10
	v_mul_f16_sdwa v4, v11, v4 dst_sel:DWORD dst_unused:UNUSED_PAD src0_sel:WORD_1 src1_sel:DWORD
	v_fma_f16 v4, v11, v9, -v4
	v_cvt_f32_f16_e32 v4, v4
	v_cvt_f64_f32_e32 v[1:2], v10
	v_mul_f64 v[1:2], v[1:2], s[2:3]
	v_and_or_b32 v1, v2, s7, v1
	v_cmp_ne_u32_e32 vcc, 0, v1
	v_cndmask_b32_e64 v1, 0, 1, vcc
	v_lshrrev_b32_e32 v3, 8, v2
	v_bfe_u32 v7, v2, 20, 11
	v_and_or_b32 v1, v3, s10, v1
	v_sub_u32_e32 v8, 0x3f1, v7
	v_or_b32_e32 v3, 0x1000, v1
	v_med3_i32 v8, v8, 0, 13
	v_lshrrev_b32_e32 v10, v8, v3
	v_lshlrev_b32_e32 v8, v8, v10
	v_cmp_ne_u32_e32 vcc, v8, v3
	v_cndmask_b32_e64 v3, 0, 1, vcc
	v_add_u32_e32 v7, 0xfffffc10, v7
	v_or_b32_e32 v3, v10, v3
	v_lshl_or_b32 v8, v7, 12, v1
	v_cmp_gt_i32_e32 vcc, 1, v7
	v_cndmask_b32_e32 v3, v8, v3, vcc
	v_and_b32_e32 v8, 7, v3
	v_cmp_lt_i32_e32 vcc, 5, v8
	v_cmp_eq_u32_e64 s[0:1], 3, v8
	v_lshrrev_b32_e32 v8, 2, v3
	v_cvt_f64_f32_e32 v[3:4], v4
	s_or_b64 vcc, s[0:1], vcc
	v_addc_co_u32_e32 v8, vcc, 0, v8, vcc
	v_mul_f64 v[3:4], v[3:4], s[2:3]
	v_cmp_gt_i32_e32 vcc, 31, v7
	v_cndmask_b32_e32 v8, v0, v8, vcc
	v_cmp_ne_u32_e32 vcc, 0, v1
	v_cndmask_b32_e64 v1, 0, 1, vcc
	v_lshl_or_b32 v1, v1, 9, v0
	v_cmp_eq_u32_e32 vcc, s11, v7
	v_cndmask_b32_e32 v1, v8, v1, vcc
	v_lshrrev_b32_e32 v2, 16, v2
	v_and_or_b32 v1, v2, s6, v1
	v_and_or_b32 v2, v4, s7, v3
	v_cmp_ne_u32_e32 vcc, 0, v2
	v_cndmask_b32_e64 v2, 0, 1, vcc
	v_lshrrev_b32_e32 v3, 8, v4
	v_bfe_u32 v7, v4, 20, 11
	v_and_or_b32 v2, v3, s10, v2
	v_sub_u32_e32 v8, 0x3f1, v7
	v_or_b32_e32 v3, 0x1000, v2
	v_med3_i32 v8, v8, 0, 13
	v_lshrrev_b32_e32 v9, v8, v3
	v_lshlrev_b32_e32 v8, v8, v9
	v_cmp_ne_u32_e32 vcc, v8, v3
	v_cndmask_b32_e64 v3, 0, 1, vcc
	v_add_u32_e32 v7, 0xfffffc10, v7
	v_or_b32_e32 v3, v9, v3
	v_lshl_or_b32 v8, v7, 12, v2
	v_cmp_gt_i32_e32 vcc, 1, v7
	v_cndmask_b32_e32 v3, v8, v3, vcc
	v_and_b32_e32 v8, 7, v3
	v_cmp_lt_i32_e32 vcc, 5, v8
	v_cmp_eq_u32_e64 s[0:1], 3, v8
	v_lshrrev_b32_e32 v3, 2, v3
	s_or_b64 vcc, s[0:1], vcc
	v_addc_co_u32_e32 v3, vcc, 0, v3, vcc
	v_cmp_gt_i32_e32 vcc, 31, v7
	v_cndmask_b32_e32 v3, v0, v3, vcc
	v_cmp_ne_u32_e32 vcc, 0, v2
	v_cndmask_b32_e64 v2, 0, 1, vcc
	v_lshl_or_b32 v0, v2, 9, v0
	v_cmp_eq_u32_e32 vcc, s11, v7
	v_cndmask_b32_e32 v0, v3, v0, vcc
	v_lshrrev_b32_e32 v2, 16, v4
	v_and_or_b32 v0, v2, s6, v0
	v_and_b32_e32 v1, 0xffff, v1
	v_lshl_or_b32 v2, v0, 16, v1
	v_mov_b32_e32 v1, s4
	v_add_co_u32_e32 v0, vcc, s5, v5
	v_addc_co_u32_e32 v1, vcc, v6, v1, vcc
	global_store_dword v[0:1], v2, off
.LBB0_2:
	s_endpgm
	.section	.rodata,"a",@progbits
	.p2align	6, 0x0
	.amdhsa_kernel bluestein_single_back_len10000_dim1_half_op_CI_CI
		.amdhsa_group_segment_fixed_size 40000
		.amdhsa_private_segment_fixed_size 108
		.amdhsa_kernarg_size 104
		.amdhsa_user_sgpr_count 6
		.amdhsa_user_sgpr_private_segment_buffer 1
		.amdhsa_user_sgpr_dispatch_ptr 0
		.amdhsa_user_sgpr_queue_ptr 0
		.amdhsa_user_sgpr_kernarg_segment_ptr 1
		.amdhsa_user_sgpr_dispatch_id 0
		.amdhsa_user_sgpr_flat_scratch_init 0
		.amdhsa_user_sgpr_private_segment_size 0
		.amdhsa_uses_dynamic_stack 0
		.amdhsa_system_sgpr_private_segment_wavefront_offset 1
		.amdhsa_system_sgpr_workgroup_id_x 1
		.amdhsa_system_sgpr_workgroup_id_y 0
		.amdhsa_system_sgpr_workgroup_id_z 0
		.amdhsa_system_sgpr_workgroup_info 0
		.amdhsa_system_vgpr_workitem_id 0
		.amdhsa_next_free_vgpr 128
		.amdhsa_next_free_sgpr 24
		.amdhsa_reserve_vcc 1
		.amdhsa_reserve_flat_scratch 0
		.amdhsa_float_round_mode_32 0
		.amdhsa_float_round_mode_16_64 0
		.amdhsa_float_denorm_mode_32 3
		.amdhsa_float_denorm_mode_16_64 3
		.amdhsa_dx10_clamp 1
		.amdhsa_ieee_mode 1
		.amdhsa_fp16_overflow 0
		.amdhsa_exception_fp_ieee_invalid_op 0
		.amdhsa_exception_fp_denorm_src 0
		.amdhsa_exception_fp_ieee_div_zero 0
		.amdhsa_exception_fp_ieee_overflow 0
		.amdhsa_exception_fp_ieee_underflow 0
		.amdhsa_exception_fp_ieee_inexact 0
		.amdhsa_exception_int_div_zero 0
	.end_amdhsa_kernel
	.text
.Lfunc_end0:
	.size	bluestein_single_back_len10000_dim1_half_op_CI_CI, .Lfunc_end0-bluestein_single_back_len10000_dim1_half_op_CI_CI
                                        ; -- End function
	.section	.AMDGPU.csdata,"",@progbits
; Kernel info:
; codeLenInByte = 37552
; NumSgprs: 28
; NumVgprs: 128
; ScratchSize: 108
; MemoryBound: 0
; FloatMode: 240
; IeeeMode: 1
; LDSByteSize: 40000 bytes/workgroup (compile time only)
; SGPRBlocks: 3
; VGPRBlocks: 31
; NumSGPRsForWavesPerEU: 28
; NumVGPRsForWavesPerEU: 128
; Occupancy: 2
; WaveLimiterHint : 1
; COMPUTE_PGM_RSRC2:SCRATCH_EN: 1
; COMPUTE_PGM_RSRC2:USER_SGPR: 6
; COMPUTE_PGM_RSRC2:TRAP_HANDLER: 0
; COMPUTE_PGM_RSRC2:TGID_X_EN: 1
; COMPUTE_PGM_RSRC2:TGID_Y_EN: 0
; COMPUTE_PGM_RSRC2:TGID_Z_EN: 0
; COMPUTE_PGM_RSRC2:TIDIG_COMP_CNT: 0
	.type	__hip_cuid_2c4ec4fc0e5edabd,@object ; @__hip_cuid_2c4ec4fc0e5edabd
	.section	.bss,"aw",@nobits
	.globl	__hip_cuid_2c4ec4fc0e5edabd
__hip_cuid_2c4ec4fc0e5edabd:
	.byte	0                               ; 0x0
	.size	__hip_cuid_2c4ec4fc0e5edabd, 1

	.ident	"AMD clang version 19.0.0git (https://github.com/RadeonOpenCompute/llvm-project roc-6.4.0 25133 c7fe45cf4b819c5991fe208aaa96edf142730f1d)"
	.section	".note.GNU-stack","",@progbits
	.addrsig
	.addrsig_sym __hip_cuid_2c4ec4fc0e5edabd
	.amdgpu_metadata
---
amdhsa.kernels:
  - .args:
      - .actual_access:  read_only
        .address_space:  global
        .offset:         0
        .size:           8
        .value_kind:     global_buffer
      - .actual_access:  read_only
        .address_space:  global
        .offset:         8
        .size:           8
        .value_kind:     global_buffer
      - .actual_access:  read_only
        .address_space:  global
        .offset:         16
        .size:           8
        .value_kind:     global_buffer
      - .actual_access:  read_only
        .address_space:  global
        .offset:         24
        .size:           8
        .value_kind:     global_buffer
      - .actual_access:  read_only
        .address_space:  global
        .offset:         32
        .size:           8
        .value_kind:     global_buffer
      - .offset:         40
        .size:           8
        .value_kind:     by_value
      - .address_space:  global
        .offset:         48
        .size:           8
        .value_kind:     global_buffer
      - .address_space:  global
        .offset:         56
        .size:           8
        .value_kind:     global_buffer
      - .address_space:  global
        .offset:         64
        .size:           8
        .value_kind:     global_buffer
      - .address_space:  global
        .offset:         72
        .size:           8
        .value_kind:     global_buffer
      - .offset:         80
        .size:           4
        .value_kind:     by_value
      - .address_space:  global
        .offset:         88
        .size:           8
        .value_kind:     global_buffer
      - .address_space:  global
        .offset:         96
        .size:           8
        .value_kind:     global_buffer
    .group_segment_fixed_size: 40000
    .kernarg_segment_align: 8
    .kernarg_segment_size: 104
    .language:       OpenCL C
    .language_version:
      - 2
      - 0
    .max_flat_workgroup_size: 500
    .name:           bluestein_single_back_len10000_dim1_half_op_CI_CI
    .private_segment_fixed_size: 108
    .sgpr_count:     28
    .sgpr_spill_count: 0
    .symbol:         bluestein_single_back_len10000_dim1_half_op_CI_CI.kd
    .uniform_work_group_size: 1
    .uses_dynamic_stack: false
    .vgpr_count:     128
    .vgpr_spill_count: 26
    .wavefront_size: 64
amdhsa.target:   amdgcn-amd-amdhsa--gfx906
amdhsa.version:
  - 1
  - 2
...

	.end_amdgpu_metadata
